;; amdgpu-corpus repo=ROCm/rocFFT kind=compiled arch=gfx906 opt=O3
	.text
	.amdgcn_target "amdgcn-amd-amdhsa--gfx906"
	.amdhsa_code_object_version 6
	.protected	bluestein_single_back_len605_dim1_dp_op_CI_CI ; -- Begin function bluestein_single_back_len605_dim1_dp_op_CI_CI
	.globl	bluestein_single_back_len605_dim1_dp_op_CI_CI
	.p2align	8
	.type	bluestein_single_back_len605_dim1_dp_op_CI_CI,@function
bluestein_single_back_len605_dim1_dp_op_CI_CI: ; @bluestein_single_back_len605_dim1_dp_op_CI_CI
; %bb.0:
	s_load_dwordx4 s[16:19], s[4:5], 0x28
	v_mul_u32_u24_e32 v1, 0x4a8, v0
	v_add_u32_sdwa v192, s6, v1 dst_sel:DWORD dst_unused:UNUSED_PAD src0_sel:DWORD src1_sel:WORD_1
	v_mov_b32_e32 v193, 0
	s_waitcnt lgkmcnt(0)
	v_cmp_gt_u64_e32 vcc, s[16:17], v[192:193]
	s_and_saveexec_b64 s[0:1], vcc
	s_cbranch_execz .LBB0_10
; %bb.1:
	s_load_dwordx4 s[0:3], s[4:5], 0x18
	s_load_dwordx4 s[12:15], s[4:5], 0x0
	v_mov_b32_e32 v2, 55
	v_mul_lo_u16_sdwa v1, v1, v2 dst_sel:DWORD dst_unused:UNUSED_PAD src0_sel:WORD_1 src1_sel:DWORD
	v_sub_u16_e32 v216, v0, v1
	s_waitcnt lgkmcnt(0)
	s_load_dwordx4 s[8:11], s[0:1], 0x0
	v_lshlrev_b32_e32 v215, 4, v216
	s_mov_b32 s17, 0xbfed1bb4
	s_mov_b32 s16, 0x8eee2c13
	;; [unrolled: 1-line block ×3, first 2 shown]
	s_waitcnt lgkmcnt(0)
	v_mad_u64_u32 v[0:1], s[0:1], s10, v192, 0
	v_mad_u64_u32 v[2:3], s[0:1], s8, v216, 0
	s_mul_i32 s6, s9, 0x370
	s_mul_hi_u32 s7, s8, 0x370
	v_mad_u64_u32 v[4:5], s[0:1], s11, v192, v[1:2]
	s_add_i32 s6, s7, s6
	s_mul_i32 s7, s8, 0x370
	v_mad_u64_u32 v[5:6], s[0:1], s9, v216, v[3:4]
	v_mov_b32_e32 v1, v4
	v_lshlrev_b64 v[0:1], 4, v[0:1]
	v_mov_b32_e32 v6, s19
	v_mov_b32_e32 v3, v5
	v_add_co_u32_e32 v4, vcc, s18, v0
	v_addc_co_u32_e32 v5, vcc, v6, v1, vcc
	v_lshlrev_b64 v[0:1], 4, v[2:3]
	v_mov_b32_e32 v2, s13
	v_add_co_u32_e32 v0, vcc, v4, v0
	v_add_co_u32_e64 v221, s[0:1], s12, v215
	v_addc_co_u32_e32 v1, vcc, v5, v1, vcc
	v_addc_co_u32_e64 v88, vcc, 0, v2, s[0:1]
	v_mov_b32_e32 v3, s6
	v_add_co_u32_e32 v2, vcc, s7, v0
	v_addc_co_u32_e32 v3, vcc, v1, v3, vcc
	global_load_dwordx4 v[44:47], v[0:1], off
	global_load_dwordx4 v[48:51], v[2:3], off
	global_load_dwordx4 v[40:43], v215, s[12:13]
	global_load_dwordx4 v[24:27], v215, s[12:13] offset:880
	v_mov_b32_e32 v1, s6
	v_add_co_u32_e32 v0, vcc, s7, v2
	v_addc_co_u32_e32 v1, vcc, v3, v1, vcc
	v_mov_b32_e32 v3, s6
	v_add_co_u32_e32 v2, vcc, s7, v0
	v_addc_co_u32_e32 v3, vcc, v1, v3, vcc
	global_load_dwordx4 v[52:55], v[0:1], off
	global_load_dwordx4 v[56:59], v[2:3], off
	global_load_dwordx4 v[32:35], v215, s[12:13] offset:1760
	global_load_dwordx4 v[16:19], v215, s[12:13] offset:2640
	v_mov_b32_e32 v1, s6
	v_add_co_u32_e32 v0, vcc, s7, v2
	v_addc_co_u32_e32 v1, vcc, v3, v1, vcc
	global_load_dwordx4 v[60:63], v[0:1], off
	global_load_dwordx4 v[8:11], v215, s[12:13] offset:3520
	v_mov_b32_e32 v2, s6
	v_add_co_u32_e32 v0, vcc, s7, v0
	v_addc_co_u32_e32 v1, vcc, v1, v2, vcc
	s_movk_i32 s8, 0x1000
	v_add_co_u32_e32 v20, vcc, s8, v221
	v_addc_co_u32_e32 v21, vcc, 0, v88, vcc
	global_load_dwordx4 v[64:67], v[0:1], off
	v_add_co_u32_e32 v0, vcc, s7, v0
	v_addc_co_u32_e32 v1, vcc, v1, v2, vcc
	global_load_dwordx4 v[68:71], v[0:1], off
	global_load_dwordx4 v[36:39], v[20:21], off offset:304
	global_load_dwordx4 v[12:15], v[20:21], off offset:1184
	v_add_co_u32_e32 v0, vcc, s7, v0
	v_addc_co_u32_e32 v1, vcc, v1, v2, vcc
	global_load_dwordx4 v[72:75], v[0:1], off
	v_add_co_u32_e32 v0, vcc, s7, v0
	v_addc_co_u32_e32 v1, vcc, v1, v2, vcc
	v_add_co_u32_e32 v22, vcc, s7, v0
	v_addc_co_u32_e32 v23, vcc, v1, v2, vcc
	global_load_dwordx4 v[76:79], v[0:1], off
	global_load_dwordx4 v[28:31], v[20:21], off offset:2064
	global_load_dwordx4 v[4:7], v[20:21], off offset:2944
	global_load_dwordx4 v[80:83], v[22:23], off
	s_nop 0
	global_load_dwordx4 v[0:3], v[20:21], off offset:3824
	v_mov_b32_e32 v21, s6
	v_add_co_u32_e32 v20, vcc, s7, v22
	v_addc_co_u32_e32 v21, vcc, v23, v21, vcc
	s_movk_i32 s6, 0x2000
	global_load_dwordx4 v[84:87], v[20:21], off
	v_add_co_u32_e32 v20, vcc, s6, v221
	v_addc_co_u32_e32 v21, vcc, 0, v88, vcc
	global_load_dwordx4 v[20:23], v[20:21], off offset:608
	s_load_dwordx4 s[8:11], s[2:3], 0x0
	s_mov_b32 s2, 0xf8bb580b
	s_mov_b32 s18, 0xd9c712b6
	;; [unrolled: 1-line block ×17, first 2 shown]
	s_waitcnt vmcnt(19)
	v_mul_f64 v[88:89], v[46:47], v[42:43]
	v_mul_f64 v[90:91], v[44:45], v[42:43]
	s_waitcnt vmcnt(18)
	v_mul_f64 v[92:93], v[50:51], v[26:27]
	v_mul_f64 v[94:95], v[48:49], v[26:27]
	s_mov_b32 s39, 0x3fd207e7
	s_mov_b32 s38, s30
	;; [unrolled: 1-line block ×4, first 2 shown]
	v_fma_f64 v[44:45], v[44:45], v[40:41], v[88:89]
	v_fma_f64 v[46:47], v[46:47], v[40:41], -v[90:91]
	v_fma_f64 v[48:49], v[48:49], v[24:25], v[92:93]
	s_waitcnt vmcnt(15)
	v_mul_f64 v[96:97], v[54:55], v[34:35]
	v_mul_f64 v[98:99], v[52:53], v[34:35]
	v_fma_f64 v[50:51], v[50:51], v[24:25], -v[94:95]
	s_mov_b32 s35, 0x3fe14ced
	s_mov_b32 s34, s2
	v_cmp_gt_u16_e32 vcc, 11, v216
                                        ; implicit-def: $vgpr140_vgpr141
                                        ; implicit-def: $vgpr144_vgpr145
                                        ; implicit-def: $vgpr148_vgpr149
	v_fma_f64 v[52:53], v[52:53], v[32:33], v[96:97]
	v_fma_f64 v[54:55], v[54:55], v[32:33], -v[98:99]
	ds_write_b128 v215, v[44:47]
	ds_write_b128 v215, v[48:51] offset:880
	ds_write_b128 v215, v[52:55] offset:1760
	s_waitcnt vmcnt(12)
	v_mul_f64 v[48:49], v[62:63], v[10:11]
	v_mul_f64 v[50:51], v[60:61], v[10:11]
	;; [unrolled: 1-line block ×4, first 2 shown]
	s_waitcnt vmcnt(9)
	v_mul_f64 v[52:53], v[66:67], v[38:39]
	v_mul_f64 v[54:55], v[64:65], v[38:39]
	s_waitcnt vmcnt(8)
	v_mul_f64 v[88:89], v[70:71], v[14:15]
	v_mul_f64 v[90:91], v[68:69], v[14:15]
	v_fma_f64 v[48:49], v[60:61], v[8:9], v[48:49]
	v_fma_f64 v[50:51], v[62:63], v[8:9], -v[50:51]
	v_fma_f64 v[44:45], v[56:57], v[16:17], v[44:45]
	v_fma_f64 v[46:47], v[58:59], v[16:17], -v[46:47]
	;; [unrolled: 2-line block ×4, first 2 shown]
	s_waitcnt vmcnt(5)
	v_mul_f64 v[60:61], v[74:75], v[30:31]
	v_mul_f64 v[62:63], v[72:73], v[30:31]
	s_waitcnt vmcnt(4)
	v_mul_f64 v[64:65], v[78:79], v[6:7]
	v_mul_f64 v[66:67], v[76:77], v[6:7]
	s_waitcnt vmcnt(2)
	v_mul_f64 v[68:69], v[82:83], v[2:3]
	v_mul_f64 v[70:71], v[80:81], v[2:3]
	v_fma_f64 v[60:61], v[72:73], v[28:29], v[60:61]
	v_fma_f64 v[62:63], v[74:75], v[28:29], -v[62:63]
	v_fma_f64 v[64:65], v[76:77], v[4:5], v[64:65]
	v_fma_f64 v[66:67], v[78:79], v[4:5], -v[66:67]
	;; [unrolled: 2-line block ×3, first 2 shown]
	s_waitcnt vmcnt(0)
	v_mul_f64 v[88:89], v[86:87], v[22:23]
	v_mul_f64 v[90:91], v[84:85], v[22:23]
	v_fma_f64 v[72:73], v[84:85], v[20:21], v[88:89]
	v_fma_f64 v[74:75], v[86:87], v[20:21], -v[90:91]
	ds_write_b128 v215, v[44:47] offset:2640
	ds_write_b128 v215, v[48:51] offset:3520
	;; [unrolled: 1-line block ×8, first 2 shown]
	s_waitcnt lgkmcnt(0)
	; wave barrier
	s_waitcnt lgkmcnt(0)
	ds_read_b128 v[48:51], v215
	ds_read_b128 v[52:55], v215 offset:880
	ds_read_b128 v[56:59], v215 offset:1760
	;; [unrolled: 1-line block ×10, first 2 shown]
	s_waitcnt lgkmcnt(9)
	v_add_f64 v[44:45], v[48:49], v[52:53]
	v_add_f64 v[46:47], v[50:51], v[54:55]
	s_waitcnt lgkmcnt(0)
	v_add_f64 v[94:95], v[54:55], -v[88:89]
	v_add_f64 v[96:97], v[52:53], v[86:87]
	v_add_f64 v[112:113], v[56:57], v[90:91]
	v_add_f64 v[114:115], v[58:59], v[92:93]
	; wave barrier
	v_add_f64 v[44:45], v[44:45], v[56:57]
	v_add_f64 v[46:47], v[46:47], v[58:59]
	v_mul_f64 v[60:61], v[94:95], s[2:3]
	v_mul_f64 v[104:105], v[94:95], s[20:21]
	;; [unrolled: 1-line block ×3, first 2 shown]
	v_add_f64 v[44:45], v[44:45], v[62:63]
	v_add_f64 v[46:47], v[46:47], v[64:65]
	v_fma_f64 v[98:99], v[96:97], s[22:23], -v[60:61]
	v_fma_f64 v[102:103], v[96:97], s[22:23], v[60:61]
	v_add_f64 v[60:61], v[64:65], v[84:85]
	v_add_f64 v[64:65], v[64:65], -v[84:85]
	v_add_f64 v[44:45], v[44:45], v[66:67]
	v_add_f64 v[46:47], v[46:47], v[68:69]
	;; [unrolled: 1-line block ×11, first 2 shown]
	v_fma_f64 v[84:85], v[96:97], s[26:27], v[110:111]
	v_add_f64 v[44:45], v[44:45], v[90:91]
	v_add_f64 v[46:47], v[46:47], v[92:93]
	v_add_f64 v[90:91], v[56:57], -v[90:91]
	v_add_f64 v[56:57], v[66:67], -v[78:79]
	;; [unrolled: 1-line block ×3, first 2 shown]
	v_add_f64 v[58:59], v[62:63], v[82:83]
	v_add_f64 v[82:83], v[62:63], -v[82:83]
	v_add_f64 v[62:63], v[68:69], -v[80:81]
	v_add_f64 v[44:45], v[44:45], v[86:87]
	v_add_f64 v[86:87], v[52:53], -v[86:87]
	v_mul_f64 v[52:53], v[94:95], s[16:17]
	v_add_f64 v[46:47], v[46:47], v[88:89]
	v_add_f64 v[88:89], v[54:55], v[88:89]
	;; [unrolled: 1-line block ×3, first 2 shown]
	v_add_f64 v[68:69], v[70:71], -v[74:75]
	v_add_f64 v[70:71], v[70:71], v[74:75]
	v_fma_f64 v[74:75], v[96:97], s[6:7], -v[104:105]
	v_mul_f64 v[100:101], v[86:87], s[2:3]
	v_fma_f64 v[106:107], v[96:97], s[18:19], -v[52:53]
	v_fma_f64 v[108:109], v[96:97], s[18:19], v[52:53]
	v_add_f64 v[52:53], v[66:67], v[78:79]
	v_add_f64 v[66:67], v[72:73], -v[76:77]
	v_add_f64 v[72:73], v[72:73], v[76:77]
	v_mul_f64 v[76:77], v[94:95], s[30:31]
	v_mul_f64 v[94:95], v[86:87], s[16:17]
	v_fma_f64 v[78:79], v[96:97], s[6:7], v[104:105]
	v_fma_f64 v[80:81], v[96:97], s[26:27], -v[110:111]
	v_mul_f64 v[110:111], v[86:87], s[20:21]
	v_fma_f64 v[116:117], v[88:89], s[22:23], v[100:101]
	v_fma_f64 v[100:101], v[88:89], s[22:23], -v[100:101]
	v_mul_f64 v[126:127], v[90:91], s[16:17]
	v_fma_f64 v[104:105], v[96:97], s[28:29], -v[76:77]
	v_fma_f64 v[76:77], v[96:97], s[28:29], v[76:77]
	v_mul_f64 v[96:97], v[86:87], s[24:25]
	v_mul_f64 v[86:87], v[86:87], s[30:31]
	v_fma_f64 v[118:119], v[88:89], s[18:19], v[94:95]
	v_fma_f64 v[94:95], v[88:89], s[18:19], -v[94:95]
	v_fma_f64 v[120:121], v[88:89], s[6:7], v[110:111]
	v_fma_f64 v[110:111], v[88:89], s[6:7], -v[110:111]
	v_add_f64 v[100:101], v[50:51], v[100:101]
	v_add_f64 v[106:107], v[48:49], v[106:107]
	v_fma_f64 v[122:123], v[88:89], s[26:27], v[96:97]
	v_fma_f64 v[96:97], v[88:89], s[26:27], -v[96:97]
	v_fma_f64 v[124:125], v[88:89], s[28:29], v[86:87]
	v_fma_f64 v[86:87], v[88:89], s[28:29], -v[86:87]
	v_add_f64 v[88:89], v[48:49], v[98:99]
	v_add_f64 v[98:99], v[50:51], v[116:117]
	;; [unrolled: 1-line block ×3, first 2 shown]
	v_mul_f64 v[118:119], v[92:93], s[16:17]
	v_add_f64 v[108:109], v[48:49], v[108:109]
	v_add_f64 v[94:95], v[50:51], v[94:95]
	;; [unrolled: 1-line block ×7, first 2 shown]
	v_fma_f64 v[128:129], v[112:113], s[18:19], -v[118:119]
	v_add_f64 v[122:123], v[50:51], v[122:123]
	v_add_f64 v[84:85], v[48:49], v[84:85]
	;; [unrolled: 1-line block ×6, first 2 shown]
	v_fma_f64 v[76:77], v[114:115], s[18:19], v[126:127]
	v_add_f64 v[50:51], v[50:51], v[86:87]
	v_add_f64 v[86:87], v[128:129], v[88:89]
	v_mul_f64 v[88:89], v[92:93], s[24:25]
	v_mul_f64 v[128:129], v[90:91], s[24:25]
	;; [unrolled: 1-line block ×4, first 2 shown]
	s_mov_b32 s17, 0x3fed1bb4
	v_add_f64 v[76:77], v[76:77], v[98:99]
	v_fma_f64 v[98:99], v[112:113], s[18:19], v[118:119]
	v_fma_f64 v[118:119], v[114:115], s[18:19], -v[126:127]
	v_fma_f64 v[126:127], v[112:113], s[26:27], -v[88:89]
	v_fma_f64 v[132:133], v[114:115], s[26:27], v[128:129]
	v_fma_f64 v[88:89], v[112:113], s[26:27], v[88:89]
	v_fma_f64 v[128:129], v[114:115], s[26:27], -v[128:129]
	v_fma_f64 v[134:135], v[112:113], s[28:29], -v[130:131]
	v_add_f64 v[98:99], v[98:99], v[102:103]
	v_add_f64 v[100:101], v[118:119], v[100:101]
	;; [unrolled: 1-line block ×6, first 2 shown]
	v_fma_f64 v[108:109], v[114:115], s[28:29], v[136:137]
	v_fma_f64 v[116:117], v[112:113], s[28:29], v[130:131]
	v_fma_f64 v[118:119], v[114:115], s[28:29], -v[136:137]
	v_mul_f64 v[126:127], v[92:93], s[36:37]
	v_mul_f64 v[92:93], v[92:93], s[34:35]
	;; [unrolled: 1-line block ×4, first 2 shown]
	v_add_f64 v[74:75], v[134:135], v[74:75]
	v_add_f64 v[108:109], v[108:109], v[120:121]
	;; [unrolled: 1-line block ×4, first 2 shown]
	v_fma_f64 v[116:117], v[112:113], s[6:7], -v[126:127]
	v_fma_f64 v[118:119], v[112:113], s[6:7], v[126:127]
	v_fma_f64 v[120:121], v[112:113], s[22:23], -v[92:93]
	v_fma_f64 v[126:127], v[114:115], s[6:7], v[128:129]
	v_fma_f64 v[92:93], v[112:113], s[22:23], v[92:93]
	v_fma_f64 v[112:113], v[114:115], s[6:7], -v[128:129]
	v_mul_f64 v[128:129], v[64:65], s[20:21]
	v_fma_f64 v[130:131], v[114:115], s[22:23], v[90:91]
	v_fma_f64 v[90:91], v[114:115], s[22:23], -v[90:91]
	v_mul_f64 v[114:115], v[82:83], s[20:21]
	v_add_f64 v[80:81], v[116:117], v[80:81]
	v_add_f64 v[116:117], v[126:127], v[122:123]
	v_add_f64 v[104:105], v[120:121], v[104:105]
	v_add_f64 v[96:97], v[112:113], v[96:97]
	v_fma_f64 v[112:113], v[58:59], s[6:7], -v[128:129]
	v_mul_f64 v[122:123], v[64:65], s[38:39]
	v_add_f64 v[50:51], v[90:91], v[50:51]
	v_fma_f64 v[120:121], v[60:61], s[6:7], v[114:115]
	v_mul_f64 v[90:91], v[82:83], s[38:39]
	v_add_f64 v[48:49], v[92:93], v[48:49]
	v_fma_f64 v[92:93], v[58:59], s[6:7], v[128:129]
	v_add_f64 v[84:85], v[118:119], v[84:85]
	v_add_f64 v[86:87], v[112:113], v[86:87]
	v_fma_f64 v[112:113], v[60:61], s[6:7], -v[114:115]
	v_add_f64 v[118:119], v[130:131], v[124:125]
	v_add_f64 v[76:77], v[120:121], v[76:77]
	v_fma_f64 v[114:115], v[58:59], s[28:29], -v[122:123]
	v_mul_f64 v[120:121], v[64:65], s[16:17]
	v_fma_f64 v[124:125], v[60:61], s[28:29], v[90:91]
	v_mul_f64 v[126:127], v[82:83], s[16:17]
	v_fma_f64 v[90:91], v[60:61], s[28:29], -v[90:91]
	v_add_f64 v[92:93], v[92:93], v[98:99]
	v_add_f64 v[98:99], v[112:113], v[100:101]
	v_fma_f64 v[100:101], v[58:59], s[28:29], v[122:123]
	v_add_f64 v[102:103], v[114:115], v[102:103]
	v_fma_f64 v[112:113], v[58:59], s[18:19], -v[120:121]
	v_add_f64 v[106:107], v[124:125], v[106:107]
	v_fma_f64 v[114:115], v[60:61], s[18:19], v[126:127]
	v_mul_f64 v[122:123], v[64:65], s[2:3]
	v_mul_f64 v[124:125], v[82:83], s[2:3]
	v_add_f64 v[90:91], v[90:91], v[94:95]
	v_fma_f64 v[94:95], v[58:59], s[18:19], v[120:121]
	v_add_f64 v[88:89], v[100:101], v[88:89]
	v_fma_f64 v[100:101], v[60:61], s[18:19], -v[126:127]
	v_add_f64 v[74:75], v[112:113], v[74:75]
	v_add_f64 v[108:109], v[114:115], v[108:109]
	v_fma_f64 v[112:113], v[58:59], s[22:23], -v[122:123]
	v_fma_f64 v[114:115], v[60:61], s[22:23], v[124:125]
	v_mul_f64 v[64:65], v[64:65], s[24:25]
	v_mul_f64 v[82:83], v[82:83], s[24:25]
	v_add_f64 v[78:79], v[94:95], v[78:79]
	v_fma_f64 v[94:95], v[58:59], s[22:23], v[122:123]
	v_add_f64 v[100:101], v[100:101], v[110:111]
	v_fma_f64 v[110:111], v[60:61], s[22:23], -v[124:125]
	v_add_f64 v[80:81], v[112:113], v[80:81]
	v_add_f64 v[112:113], v[114:115], v[116:117]
	v_fma_f64 v[114:115], v[58:59], s[26:27], -v[64:65]
	v_fma_f64 v[116:117], v[60:61], s[26:27], v[82:83]
	v_mul_f64 v[120:121], v[62:63], s[24:25]
	v_add_f64 v[84:85], v[94:95], v[84:85]
	v_mul_f64 v[94:95], v[56:57], s[24:25]
	v_add_f64 v[96:97], v[110:111], v[96:97]
	v_fma_f64 v[60:61], v[60:61], s[26:27], -v[82:83]
	v_mul_f64 v[110:111], v[62:63], s[36:37]
	v_fma_f64 v[58:59], v[58:59], s[26:27], v[64:65]
	v_add_f64 v[64:65], v[114:115], v[104:105]
	v_add_f64 v[82:83], v[116:117], v[118:119]
	v_fma_f64 v[104:105], v[52:53], s[26:27], -v[120:121]
	v_fma_f64 v[114:115], v[54:55], s[26:27], v[94:95]
	v_mul_f64 v[116:117], v[56:57], s[36:37]
	v_add_f64 v[50:51], v[60:61], v[50:51]
	v_fma_f64 v[60:61], v[54:55], s[26:27], -v[94:95]
	v_fma_f64 v[94:95], v[52:53], s[6:7], -v[110:111]
	v_add_f64 v[48:49], v[58:59], v[48:49]
	v_fma_f64 v[58:59], v[52:53], s[26:27], v[120:121]
	v_add_f64 v[86:87], v[104:105], v[86:87]
	v_add_f64 v[76:77], v[114:115], v[76:77]
	v_fma_f64 v[104:105], v[54:55], s[6:7], v[116:117]
	v_mul_f64 v[114:115], v[62:63], s[2:3]
	v_mul_f64 v[118:119], v[56:57], s[2:3]
	v_add_f64 v[60:61], v[60:61], v[98:99]
	v_add_f64 v[98:99], v[94:95], v[102:103]
	v_fma_f64 v[94:95], v[54:55], s[6:7], -v[116:117]
	v_mul_f64 v[116:117], v[56:57], s[30:31]
	v_add_f64 v[58:59], v[58:59], v[92:93]
	v_fma_f64 v[92:93], v[52:53], s[6:7], v[110:111]
	v_add_f64 v[102:103], v[104:105], v[106:107]
	v_fma_f64 v[104:105], v[52:53], s[22:23], -v[114:115]
	v_fma_f64 v[106:107], v[54:55], s[22:23], v[118:119]
	v_mul_f64 v[110:111], v[62:63], s[30:31]
	v_add_f64 v[90:91], v[94:95], v[90:91]
	v_fma_f64 v[94:95], v[54:55], s[28:29], v[116:117]
	v_mul_f64 v[62:63], v[62:63], s[16:17]
	v_add_f64 v[88:89], v[92:93], v[88:89]
	v_mul_f64 v[56:57], v[56:57], s[16:17]
	v_add_f64 v[74:75], v[104:105], v[74:75]
	v_add_f64 v[104:105], v[106:107], v[108:109]
	v_fma_f64 v[92:93], v[52:53], s[28:29], -v[110:111]
	v_fma_f64 v[106:107], v[52:53], s[28:29], v[110:111]
	v_add_f64 v[110:111], v[94:95], v[112:113]
	v_mul_f64 v[94:95], v[68:69], s[30:31]
	v_fma_f64 v[108:109], v[54:55], s[28:29], -v[116:117]
	v_fma_f64 v[114:115], v[52:53], s[22:23], v[114:115]
	v_fma_f64 v[118:119], v[54:55], s[22:23], -v[118:119]
	v_fma_f64 v[112:113], v[54:55], s[18:19], v[56:57]
	v_add_f64 v[80:81], v[92:93], v[80:81]
	v_mul_f64 v[92:93], v[66:67], s[30:31]
	v_add_f64 v[84:85], v[106:107], v[84:85]
	v_fma_f64 v[106:107], v[52:53], s[18:19], -v[62:63]
	v_fma_f64 v[52:53], v[52:53], s[18:19], v[62:63]
	v_fma_f64 v[54:55], v[54:55], s[18:19], -v[56:57]
	v_fma_f64 v[62:63], v[72:73], s[28:29], v[94:95]
	v_add_f64 v[96:97], v[108:109], v[96:97]
	v_mul_f64 v[108:109], v[68:69], s[34:35]
	v_fma_f64 v[56:57], v[70:71], s[28:29], -v[92:93]
	v_add_f64 v[78:79], v[114:115], v[78:79]
	v_add_f64 v[106:107], v[106:107], v[64:65]
	v_mul_f64 v[64:65], v[66:67], s[34:35]
	v_add_f64 v[114:115], v[54:55], v[50:51]
	v_add_f64 v[50:51], v[62:63], v[76:77]
	v_fma_f64 v[54:55], v[72:73], s[28:29], -v[94:95]
	v_mul_f64 v[76:77], v[66:67], s[24:25]
	v_add_f64 v[82:83], v[112:113], v[82:83]
	v_add_f64 v[112:113], v[52:53], v[48:49]
	;; [unrolled: 1-line block ×3, first 2 shown]
	v_fma_f64 v[52:53], v[70:71], s[28:29], v[92:93]
	v_fma_f64 v[56:57], v[70:71], s[22:23], -v[64:65]
	v_fma_f64 v[62:63], v[72:73], s[22:23], v[108:109]
	v_mul_f64 v[86:87], v[68:69], s[24:25]
	v_fma_f64 v[64:65], v[70:71], s[22:23], v[64:65]
	v_add_f64 v[94:95], v[54:55], v[60:61]
	v_fma_f64 v[60:61], v[70:71], s[26:27], -v[76:77]
	v_add_f64 v[100:101], v[118:119], v[100:101]
	v_add_f64 v[92:93], v[52:53], v[58:59]
	v_add_f64 v[52:53], v[56:57], v[98:99]
	v_add_f64 v[54:55], v[62:63], v[102:103]
	v_fma_f64 v[62:63], v[72:73], s[26:27], v[86:87]
	v_add_f64 v[56:57], v[64:65], v[88:89]
	v_fma_f64 v[64:65], v[70:71], s[26:27], v[76:77]
	v_fma_f64 v[76:77], v[72:73], s[26:27], -v[86:87]
	v_mul_f64 v[86:87], v[66:67], s[16:17]
	v_mul_f64 v[88:89], v[68:69], s[16:17]
	v_fma_f64 v[108:109], v[72:73], s[22:23], -v[108:109]
	v_add_f64 v[60:61], v[60:61], v[74:75]
	v_mul_f64 v[74:75], v[66:67], s[20:21]
	v_mul_f64 v[68:69], v[68:69], s[20:21]
	v_add_f64 v[64:65], v[64:65], v[78:79]
	v_add_f64 v[66:67], v[76:77], v[100:101]
	v_fma_f64 v[76:77], v[70:71], s[18:19], -v[86:87]
	v_fma_f64 v[78:79], v[72:73], s[18:19], v[88:89]
	v_add_f64 v[58:59], v[108:109], v[90:91]
	v_fma_f64 v[86:87], v[70:71], s[18:19], v[86:87]
	v_fma_f64 v[90:91], v[70:71], s[6:7], -v[74:75]
	v_fma_f64 v[98:99], v[72:73], s[6:7], v[68:69]
	v_fma_f64 v[100:101], v[70:71], s[6:7], v[74:75]
	v_fma_f64 v[102:103], v[72:73], s[6:7], -v[68:69]
	v_fma_f64 v[88:89], v[72:73], s[18:19], -v[88:89]
	v_add_f64 v[62:63], v[62:63], v[104:105]
	v_add_f64 v[68:69], v[76:77], v[80:81]
	v_add_f64 v[70:71], v[78:79], v[110:111]
	v_add_f64 v[76:77], v[90:91], v[106:107]
	v_add_f64 v[78:79], v[98:99], v[82:83]
	v_add_f64 v[72:73], v[86:87], v[84:85]
	v_add_f64 v[80:81], v[100:101], v[112:113]
	v_add_f64 v[82:83], v[102:103], v[114:115]
	v_mul_lo_u16_e32 v84, 11, v216
	v_add_f64 v[74:75], v[88:89], v[96:97]
	v_lshlrev_b32_e32 v218, 4, v84
	ds_write_b128 v218, v[44:47]
	ds_write_b128 v218, v[48:51] offset:16
	ds_write_b128 v218, v[52:55] offset:32
	;; [unrolled: 1-line block ×10, first 2 shown]
	s_waitcnt lgkmcnt(0)
	; wave barrier
	s_waitcnt lgkmcnt(0)
	ds_read_b128 v[100:103], v215
	ds_read_b128 v[96:99], v215 offset:880
	ds_read_b128 v[120:123], v215 offset:1936
	ds_read_b128 v[104:107], v215 offset:2816
	ds_read_b128 v[124:127], v215 offset:3872
	ds_read_b128 v[108:111], v215 offset:4752
	ds_read_b128 v[128:131], v215 offset:5808
	ds_read_b128 v[112:115], v215 offset:6688
	ds_read_b128 v[132:135], v215 offset:7744
	ds_read_b128 v[116:119], v215 offset:8624
	s_load_dwordx2 s[2:3], s[4:5], 0x38
                                        ; implicit-def: $vgpr136_vgpr137
	s_and_saveexec_b64 s[4:5], vcc
	s_cbranch_execz .LBB0_3
; %bb.2:
	ds_read_b128 v[92:95], v215 offset:1760
	ds_read_b128 v[136:139], v215 offset:3696
	;; [unrolled: 1-line block ×5, first 2 shown]
.LBB0_3:
	s_or_b64 exec, exec, s[4:5]
	s_movk_i32 s4, 0x75
	v_mul_lo_u16_sdwa v44, v216, s4 dst_sel:DWORD dst_unused:UNUSED_PAD src0_sel:BYTE_0 src1_sel:DWORD
	v_sub_u16_sdwa v45, v216, v44 dst_sel:DWORD dst_unused:UNUSED_PAD src0_sel:DWORD src1_sel:BYTE_1
	v_lshrrev_b16_e32 v45, 1, v45
	v_and_b32_e32 v45, 0x7f, v45
	v_add_u16_sdwa v44, v45, v44 dst_sel:DWORD dst_unused:UNUSED_PAD src0_sel:DWORD src1_sel:BYTE_1
	v_lshrrev_b16_e32 v152, 3, v44
	v_mul_lo_u16_e32 v44, 11, v152
	v_sub_u16_e32 v44, v216, v44
	v_and_b32_e32 v153, 0xff, v44
	v_lshlrev_b32_e32 v44, 6, v153
	global_load_dwordx4 v[64:67], v44, s[14:15] offset:48
	global_load_dwordx4 v[68:71], v44, s[14:15] offset:32
	;; [unrolled: 1-line block ×3, first 2 shown]
	global_load_dwordx4 v[76:79], v44, s[14:15]
	v_add_u16_e32 v44, 55, v216
	v_mul_lo_u16_sdwa v45, v44, s4 dst_sel:DWORD dst_unused:UNUSED_PAD src0_sel:BYTE_0 src1_sel:DWORD
	v_sub_u16_sdwa v46, v44, v45 dst_sel:DWORD dst_unused:UNUSED_PAD src0_sel:DWORD src1_sel:BYTE_1
	v_lshrrev_b16_e32 v46, 1, v46
	v_and_b32_e32 v46, 0x7f, v46
	v_add_u16_sdwa v45, v46, v45 dst_sel:DWORD dst_unused:UNUSED_PAD src0_sel:DWORD src1_sel:BYTE_1
	v_lshrrev_b16_e32 v154, 3, v45
	v_mul_lo_u16_e32 v45, 11, v154
	v_sub_u16_e32 v44, v44, v45
	v_and_b32_e32 v155, 0xff, v44
	v_lshlrev_b32_e32 v44, 6, v155
	global_load_dwordx4 v[60:63], v44, s[14:15] offset:48
	global_load_dwordx4 v[80:83], v44, s[14:15] offset:32
	;; [unrolled: 1-line block ×3, first 2 shown]
	global_load_dwordx4 v[88:91], v44, s[14:15]
	v_add_u16_e32 v44, 0x6e, v216
	v_mul_lo_u16_sdwa v45, v44, s4 dst_sel:DWORD dst_unused:UNUSED_PAD src0_sel:BYTE_0 src1_sel:DWORD
	v_sub_u16_sdwa v46, v44, v45 dst_sel:DWORD dst_unused:UNUSED_PAD src0_sel:DWORD src1_sel:BYTE_1
	v_lshrrev_b16_e32 v46, 1, v46
	v_and_b32_e32 v46, 0x7f, v46
	v_add_u16_sdwa v45, v46, v45 dst_sel:DWORD dst_unused:UNUSED_PAD src0_sel:DWORD src1_sel:BYTE_1
	v_lshrrev_b16_e32 v45, 3, v45
	v_mul_lo_u16_e32 v45, 11, v45
	v_sub_u16_e32 v217, v44, v45
	v_lshlrev_b16_e32 v44, 2, v217
	v_and_b32_e32 v44, 0xfc, v44
	v_lshlrev_b32_e32 v48, 4, v44
	global_load_dwordx4 v[44:47], v48, s[14:15]
	global_load_dwordx4 v[56:59], v48, s[14:15] offset:16
	global_load_dwordx4 v[52:55], v48, s[14:15] offset:32
	s_nop 0
	global_load_dwordx4 v[48:51], v48, s[14:15] offset:48
	s_mov_b32 s16, 0x134454ff
	s_mov_b32 s17, 0x3fee6f0e
	;; [unrolled: 1-line block ×10, first 2 shown]
	v_mul_u32_u24_e32 v152, 55, v152
	v_add_lshl_u32 v219, v152, v153, 4
	s_waitcnt lgkmcnt(0)
	; wave barrier
	s_waitcnt vmcnt(11) lgkmcnt(0)
	v_mul_f64 v[168:169], v[134:135], v[66:67]
	s_waitcnt vmcnt(10)
	v_mul_f64 v[164:165], v[130:131], v[70:71]
	s_waitcnt vmcnt(9)
	;; [unrolled: 2-line block ×3, first 2 shown]
	v_mul_f64 v[156:157], v[122:123], v[78:79]
	v_mul_f64 v[158:159], v[120:121], v[78:79]
	;; [unrolled: 1-line block ×5, first 2 shown]
	v_fma_f64 v[128:129], v[128:129], v[68:69], -v[164:165]
	v_fma_f64 v[124:125], v[124:125], v[72:73], -v[160:161]
	;; [unrolled: 1-line block ×3, first 2 shown]
	s_waitcnt vmcnt(7)
	v_mul_f64 v[184:185], v[118:119], v[62:63]
	v_fma_f64 v[156:157], v[132:133], v[64:65], -v[168:169]
	s_waitcnt vmcnt(5)
	v_mul_f64 v[176:177], v[110:111], v[86:87]
	s_waitcnt vmcnt(4)
	v_mul_f64 v[172:173], v[106:107], v[90:91]
	v_mul_f64 v[174:175], v[104:105], v[90:91]
	;; [unrolled: 1-line block ×4, first 2 shown]
	v_fma_f64 v[122:123], v[122:123], v[76:77], v[158:159]
	v_fma_f64 v[126:127], v[126:127], v[72:73], v[162:163]
	;; [unrolled: 1-line block ×4, first 2 shown]
	v_fma_f64 v[168:169], v[116:117], v[60:61], -v[184:185]
	v_fma_f64 v[160:161], v[104:105], v[88:89], -v[172:173]
	s_waitcnt vmcnt(3)
	v_mul_f64 v[190:191], v[136:137], v[46:47]
	s_waitcnt vmcnt(2)
	v_mul_f64 v[195:196], v[140:141], v[58:59]
	v_mul_f64 v[188:189], v[138:139], v[46:47]
	;; [unrolled: 1-line block ×3, first 2 shown]
	s_waitcnt vmcnt(1)
	v_mul_f64 v[197:198], v[146:147], v[54:55]
	v_mul_f64 v[199:200], v[144:145], v[54:55]
	s_waitcnt vmcnt(0)
	v_mul_f64 v[201:202], v[150:151], v[50:51]
	v_mul_f64 v[203:204], v[148:149], v[50:51]
	v_fma_f64 v[134:135], v[138:139], v[44:45], v[190:191]
	v_fma_f64 v[116:117], v[142:143], v[56:57], v[195:196]
	v_add_f64 v[138:139], v[124:125], v[128:129]
	v_add_f64 v[142:143], v[120:121], v[156:157]
	v_fma_f64 v[162:163], v[106:107], v[88:89], v[174:175]
	v_fma_f64 v[164:165], v[108:109], v[84:85], -v[176:177]
	v_fma_f64 v[166:167], v[110:111], v[84:85], v[178:179]
	v_fma_f64 v[170:171], v[118:119], v[60:61], v[186:187]
	v_fma_f64 v[104:105], v[136:137], v[44:45], -v[188:189]
	v_fma_f64 v[106:107], v[140:141], v[56:57], -v[193:194]
	;; [unrolled: 1-line block ×3, first 2 shown]
	v_fma_f64 v[118:119], v[146:147], v[52:53], v[199:200]
	v_fma_f64 v[110:111], v[148:149], v[48:49], -v[201:202]
	v_add_f64 v[136:137], v[100:101], v[120:121]
	v_add_f64 v[140:141], v[122:123], -v[158:159]
	v_add_f64 v[144:145], v[126:127], -v[130:131]
	;; [unrolled: 1-line block ×4, first 2 shown]
	v_fma_f64 v[138:139], v[138:139], -0.5, v[100:101]
	v_fma_f64 v[100:101], v[142:143], -0.5, v[100:101]
	v_fma_f64 v[132:133], v[150:151], v[48:49], v[203:204]
	v_add_f64 v[150:151], v[124:125], -v[120:121]
	v_add_f64 v[172:173], v[128:129], -v[156:157]
	v_add_f64 v[174:175], v[102:103], v[122:123]
	v_add_f64 v[176:177], v[124:125], -v[128:129]
	v_add_f64 v[124:125], v[136:137], v[124:125]
	v_add_f64 v[146:147], v[146:147], v[148:149]
	v_fma_f64 v[136:137], v[140:141], s[16:17], v[138:139]
	v_fma_f64 v[138:139], v[140:141], s[20:21], v[138:139]
	;; [unrolled: 1-line block ×4, first 2 shown]
	v_mul_f64 v[180:181], v[114:115], v[82:83]
	v_add_f64 v[142:143], v[126:127], v[130:131]
	v_add_f64 v[150:151], v[150:151], v[172:173]
	;; [unrolled: 1-line block ×4, first 2 shown]
	v_fma_f64 v[128:129], v[144:145], s[4:5], v[136:137]
	v_fma_f64 v[138:139], v[144:145], s[18:19], v[138:139]
	v_fma_f64 v[144:145], v[140:141], s[4:5], v[148:149]
	v_fma_f64 v[148:149], v[140:141], s[18:19], v[100:101]
	v_add_f64 v[174:175], v[122:123], v[158:159]
	v_mul_f64 v[182:183], v[112:113], v[82:83]
	v_fma_f64 v[112:113], v[112:113], v[80:81], -v[180:181]
	v_add_f64 v[120:121], v[120:121], -v[156:157]
	v_fma_f64 v[142:143], v[142:143], -0.5, v[102:103]
	v_add_f64 v[172:173], v[172:173], v[130:131]
	v_add_f64 v[100:101], v[124:125], v[156:157]
	v_fma_f64 v[144:145], v[150:151], s[6:7], v[144:145]
	v_fma_f64 v[148:149], v[150:151], s[6:7], v[148:149]
	v_fma_f64 v[124:125], v[174:175], -0.5, v[102:103]
	v_add_f64 v[150:151], v[96:97], v[160:161]
	v_fma_f64 v[136:137], v[146:147], s[6:7], v[128:129]
	v_fma_f64 v[178:179], v[120:121], s[20:21], v[142:143]
	;; [unrolled: 1-line block ×3, first 2 shown]
	v_add_f64 v[102:103], v[172:173], v[158:159]
	v_add_f64 v[128:129], v[122:123], -v[126:127]
	v_add_f64 v[138:139], v[158:159], -v[130:131]
	v_fma_f64 v[142:143], v[120:121], s[16:17], v[142:143]
	v_add_f64 v[156:157], v[164:165], v[112:113]
	v_fma_f64 v[172:173], v[176:177], s[16:17], v[124:125]
	v_add_f64 v[122:123], v[126:127], -v[122:123]
	v_add_f64 v[126:127], v[130:131], -v[158:159]
	v_fma_f64 v[124:125], v[176:177], s[20:21], v[124:125]
	v_add_f64 v[150:151], v[150:151], v[164:165]
	v_fma_f64 v[114:115], v[114:115], v[80:81], v[182:183]
	v_fma_f64 v[146:147], v[176:177], s[18:19], v[178:179]
	v_add_f64 v[128:129], v[128:129], v[138:139]
	v_fma_f64 v[130:131], v[176:177], s[4:5], v[142:143]
	v_fma_f64 v[156:157], v[156:157], -0.5, v[96:97]
	v_add_f64 v[158:159], v[162:163], -v[170:171]
	v_fma_f64 v[172:173], v[120:121], s[18:19], v[172:173]
	v_add_f64 v[122:123], v[122:123], v[126:127]
	v_fma_f64 v[120:121], v[120:121], s[4:5], v[124:125]
	v_add_f64 v[124:125], v[160:161], v[168:169]
	v_add_f64 v[126:127], v[150:151], v[112:113]
	v_fma_f64 v[138:139], v[128:129], s[6:7], v[146:147]
	v_fma_f64 v[142:143], v[128:129], s[6:7], v[130:131]
	;; [unrolled: 1-line block ×3, first 2 shown]
	v_add_f64 v[130:131], v[166:167], -v[114:115]
	v_fma_f64 v[146:147], v[122:123], s[6:7], v[172:173]
	v_add_f64 v[172:173], v[160:161], -v[164:165]
	v_add_f64 v[174:175], v[168:169], -v[112:113]
	v_fma_f64 v[156:157], v[158:159], s[20:21], v[156:157]
	v_fma_f64 v[124:125], v[124:125], -0.5, v[96:97]
	v_fma_f64 v[150:151], v[122:123], s[6:7], v[120:121]
	v_add_f64 v[96:97], v[126:127], v[168:169]
	v_add_f64 v[122:123], v[98:99], v[162:163]
	;; [unrolled: 1-line block ×3, first 2 shown]
	v_fma_f64 v[120:121], v[130:131], s[4:5], v[128:129]
	v_add_f64 v[128:129], v[172:173], v[174:175]
	v_fma_f64 v[172:173], v[130:131], s[18:19], v[156:157]
	v_fma_f64 v[174:175], v[130:131], s[20:21], v[124:125]
	v_add_f64 v[176:177], v[164:165], -v[160:161]
	v_add_f64 v[178:179], v[112:113], -v[168:169]
	v_fma_f64 v[124:125], v[130:131], s[16:17], v[124:125]
	v_add_f64 v[122:123], v[122:123], v[166:167]
	v_fma_f64 v[126:127], v[126:127], -0.5, v[98:99]
	v_add_f64 v[130:131], v[160:161], -v[168:169]
	v_add_f64 v[168:169], v[162:163], v[170:171]
	v_fma_f64 v[156:157], v[128:129], s[6:7], v[120:121]
	v_fma_f64 v[160:161], v[128:129], s[6:7], v[172:173]
	;; [unrolled: 1-line block ×3, first 2 shown]
	v_add_f64 v[128:129], v[176:177], v[178:179]
	v_fma_f64 v[124:125], v[158:159], s[18:19], v[124:125]
	v_add_f64 v[122:123], v[122:123], v[114:115]
	v_fma_f64 v[158:159], v[130:131], s[20:21], v[126:127]
	v_add_f64 v[112:113], v[164:165], -v[112:113]
	v_fma_f64 v[126:127], v[130:131], s[16:17], v[126:127]
	v_fma_f64 v[176:177], v[168:169], -0.5, v[98:99]
	v_add_f64 v[172:173], v[162:163], -v[166:167]
	v_add_f64 v[174:175], v[170:171], -v[114:115]
	v_fma_f64 v[164:165], v[128:129], s[6:7], v[120:121]
	v_fma_f64 v[168:169], v[128:129], s[6:7], v[124:125]
	v_add_f64 v[98:99], v[122:123], v[170:171]
	v_fma_f64 v[120:121], v[112:113], s[18:19], v[158:159]
	v_add_f64 v[122:123], v[106:107], v[108:109]
	v_fma_f64 v[126:127], v[112:113], s[4:5], v[126:127]
	v_fma_f64 v[128:129], v[112:113], s[16:17], v[176:177]
	v_add_f64 v[166:167], v[166:167], -v[162:163]
	v_add_f64 v[114:115], v[114:115], -v[170:171]
	v_fma_f64 v[112:113], v[112:113], s[20:21], v[176:177]
	v_add_f64 v[124:125], v[172:173], v[174:175]
	v_add_f64 v[170:171], v[104:105], v[110:111]
	v_fma_f64 v[122:123], v[122:123], -0.5, v[92:93]
	v_add_f64 v[172:173], v[134:135], -v[132:133]
	v_add_f64 v[174:175], v[110:111], -v[108:109]
	v_add_f64 v[176:177], v[116:117], v[118:119]
	v_add_f64 v[114:115], v[166:167], v[114:115]
	v_fma_f64 v[112:113], v[130:131], s[4:5], v[112:113]
	v_fma_f64 v[158:159], v[124:125], s[6:7], v[120:121]
	;; [unrolled: 1-line block ×4, first 2 shown]
	v_add_f64 v[124:125], v[116:117], -v[118:119]
	v_fma_f64 v[126:127], v[170:171], -0.5, v[92:93]
	v_fma_f64 v[128:129], v[172:173], s[16:17], v[122:123]
	v_add_f64 v[130:131], v[104:105], -v[106:107]
	v_fma_f64 v[170:171], v[114:115], s[6:7], v[112:113]
	v_add_f64 v[112:113], v[134:135], v[132:133]
	v_add_f64 v[178:179], v[106:107], -v[104:105]
	v_fma_f64 v[166:167], v[114:115], s[6:7], v[120:121]
	v_fma_f64 v[120:121], v[172:173], s[20:21], v[122:123]
	;; [unrolled: 1-line block ×4, first 2 shown]
	v_add_f64 v[128:129], v[130:131], v[174:175]
	v_fma_f64 v[130:131], v[176:177], -0.5, v[94:95]
	v_add_f64 v[174:175], v[104:105], -v[110:111]
	v_add_f64 v[176:177], v[106:107], -v[108:109]
	v_fma_f64 v[112:113], v[112:113], -0.5, v[94:95]
	v_fma_f64 v[120:121], v[124:125], s[18:19], v[120:121]
	v_add_f64 v[180:181], v[108:109], -v[110:111]
	v_fma_f64 v[124:125], v[124:125], s[16:17], v[126:127]
	v_add_f64 v[182:183], v[134:135], -v[116:117]
	v_add_f64 v[184:185], v[132:133], -v[118:119]
	v_fma_f64 v[126:127], v[174:175], s[20:21], v[130:131]
	v_fma_f64 v[130:131], v[174:175], s[16:17], v[130:131]
	;; [unrolled: 1-line block ×3, first 2 shown]
	v_add_f64 v[188:189], v[116:117], -v[134:135]
	v_add_f64 v[190:191], v[118:119], -v[132:133]
	v_fma_f64 v[112:113], v[176:177], s[20:21], v[112:113]
	v_fma_f64 v[122:123], v[172:173], s[4:5], v[122:123]
	v_add_f64 v[178:179], v[178:179], v[180:181]
	v_fma_f64 v[124:125], v[172:173], s[18:19], v[124:125]
	v_fma_f64 v[126:127], v[176:177], s[18:19], v[126:127]
	v_add_f64 v[172:173], v[182:183], v[184:185]
	;; [unrolled: 3-line block ×3, first 2 shown]
	v_fma_f64 v[174:175], v[174:175], s[4:5], v[112:113]
	v_fma_f64 v[112:113], v[128:129], s[6:7], v[114:115]
	;; [unrolled: 1-line block ×9, first 2 shown]
	ds_write_b128 v219, v[100:103]
	ds_write_b128 v219, v[136:139] offset:176
	ds_write_b128 v219, v[144:147] offset:352
	;; [unrolled: 1-line block ×4, first 2 shown]
	v_mul_u32_u24_e32 v100, 55, v154
	v_add_lshl_u32 v220, v100, v155, 4
	ds_write_b128 v220, v[96:99]
	ds_write_b128 v220, v[156:159] offset:176
	ds_write_b128 v220, v[164:167] offset:352
	;; [unrolled: 1-line block ×4, first 2 shown]
	s_and_saveexec_b64 s[4:5], vcc
	s_cbranch_execz .LBB0_5
; %bb.4:
	v_add_f64 v[94:95], v[94:95], v[134:135]
	v_add_f64 v[92:93], v[92:93], v[104:105]
	v_mov_b32_e32 v96, 4
	v_lshlrev_b32_sdwa v96, v96, v217 dst_sel:DWORD dst_unused:UNUSED_PAD src0_sel:DWORD src1_sel:BYTE_0
	v_add_f64 v[94:95], v[94:95], v[116:117]
	v_add_f64 v[92:93], v[92:93], v[106:107]
	;; [unrolled: 1-line block ×6, first 2 shown]
	ds_write_b128 v96, v[112:115] offset:8976
	ds_write_b128 v96, v[120:123] offset:9152
	;; [unrolled: 1-line block ×5, first 2 shown]
.LBB0_5:
	s_or_b64 exec, exec, s[4:5]
	v_mov_b32_e32 v92, s13
	v_addc_co_u32_e64 v222, s[0:1], 0, v92, s[0:1]
	v_mov_b32_e32 v97, s15
	s_movk_i32 s0, 0xa0
	v_mov_b32_e32 v96, s14
	v_mad_u64_u32 v[197:198], s[0:1], v216, s0, v[96:97]
	s_waitcnt lgkmcnt(0)
	; wave barrier
	s_waitcnt lgkmcnt(0)
	ds_read_b128 v[152:155], v215
	ds_read_b128 v[92:95], v215 offset:880
	ds_read_b128 v[100:103], v215 offset:1760
	;; [unrolled: 1-line block ×10, first 2 shown]
	global_load_dwordx4 v[96:99], v[197:198], off offset:752
	global_load_dwordx4 v[104:107], v[197:198], off offset:736
	;; [unrolled: 1-line block ×4, first 2 shown]
	s_mov_b32 s16, 0xf8bb580b
	s_mov_b32 s17, 0xbfe14ced
	;; [unrolled: 1-line block ×27, first 2 shown]
	s_movk_i32 s0, 0x25d0
	s_waitcnt vmcnt(0) lgkmcnt(9)
	v_mul_f64 v[140:141], v[94:95], v[134:135]
	v_fma_f64 v[199:200], v[92:93], v[132:133], -v[140:141]
	v_mul_f64 v[92:93], v[92:93], v[134:135]
	v_fma_f64 v[201:202], v[94:95], v[132:133], v[92:93]
	s_waitcnt lgkmcnt(8)
	v_mul_f64 v[92:93], v[102:103], v[118:119]
	v_fma_f64 v[180:181], v[100:101], v[116:117], -v[92:93]
	v_mul_f64 v[92:93], v[100:101], v[118:119]
	v_fma_f64 v[182:183], v[102:103], v[116:117], v[92:93]
	s_waitcnt lgkmcnt(7)
	;; [unrolled: 5-line block ×3, first 2 shown]
	v_mul_f64 v[92:93], v[138:139], v[98:99]
	v_fma_f64 v[166:167], v[136:137], v[96:97], -v[92:93]
	v_mul_f64 v[92:93], v[136:137], v[98:99]
	v_fma_f64 v[164:165], v[138:139], v[96:97], v[92:93]
	global_load_dwordx4 v[92:95], v[197:198], off offset:816
	global_load_dwordx4 v[100:103], v[197:198], off offset:800
	;; [unrolled: 1-line block ×4, first 2 shown]
	s_waitcnt vmcnt(0) lgkmcnt(5)
	v_mul_f64 v[136:137], v[146:147], v[142:143]
	v_fma_f64 v[160:161], v[144:145], v[140:141], -v[136:137]
	v_mul_f64 v[136:137], v[144:145], v[142:143]
	v_fma_f64 v[156:157], v[146:147], v[140:141], v[136:137]
	s_waitcnt lgkmcnt(4)
	v_mul_f64 v[136:137], v[150:151], v[110:111]
	v_fma_f64 v[162:163], v[148:149], v[108:109], -v[136:137]
	v_mul_f64 v[136:137], v[148:149], v[110:111]
	v_fma_f64 v[158:159], v[150:151], v[108:109], v[136:137]
	s_waitcnt lgkmcnt(3)
	v_mul_f64 v[136:137], v[178:179], v[102:103]
	v_add_f64 v[150:151], v[154:155], v[201:202]
	v_fma_f64 v[170:171], v[176:177], v[100:101], -v[136:137]
	v_mul_f64 v[136:137], v[176:177], v[102:103]
	v_add_f64 v[150:151], v[150:151], v[182:183]
	v_fma_f64 v[168:169], v[178:179], v[100:101], v[136:137]
	s_waitcnt lgkmcnt(2)
	v_mul_f64 v[136:137], v[186:187], v[94:95]
	v_add_f64 v[150:151], v[150:151], v[172:173]
	v_fma_f64 v[178:179], v[184:185], v[92:93], -v[136:137]
	v_mul_f64 v[136:137], v[184:185], v[94:95]
	v_add_f64 v[150:151], v[150:151], v[164:165]
	v_fma_f64 v[176:177], v[186:187], v[92:93], v[136:137]
	global_load_dwordx4 v[136:139], v[197:198], off offset:848
	global_load_dwordx4 v[144:147], v[197:198], off offset:832
	v_add_f64 v[150:151], v[150:151], v[156:157]
	v_add_f64 v[150:151], v[150:151], v[158:159]
	;; [unrolled: 1-line block ×4, first 2 shown]
	s_waitcnt vmcnt(0) lgkmcnt(1)
	v_mul_f64 v[148:149], v[190:191], v[146:147]
	v_fma_f64 v[209:210], v[188:189], v[144:145], -v[148:149]
	v_mul_f64 v[148:149], v[188:189], v[146:147]
	v_fma_f64 v[211:212], v[190:191], v[144:145], v[148:149]
	s_waitcnt lgkmcnt(0)
	v_mul_f64 v[148:149], v[195:196], v[138:139]
	v_add_f64 v[150:151], v[150:151], v[211:212]
	v_fma_f64 v[184:185], v[193:194], v[136:137], -v[148:149]
	v_mul_f64 v[148:149], v[193:194], v[138:139]
	v_add_f64 v[223:224], v[199:200], v[184:185]
	v_fma_f64 v[186:187], v[195:196], v[136:137], v[148:149]
	v_add_f64 v[148:149], v[152:153], v[199:200]
	v_add_f64 v[199:200], v[199:200], -v[184:185]
	v_add_f64 v[197:198], v[201:202], -v[186:187]
	v_add_f64 v[148:149], v[148:149], v[180:181]
	v_add_f64 v[150:151], v[150:151], v[186:187]
	;; [unrolled: 1-line block ×3, first 2 shown]
	v_mul_f64 v[239:240], v[199:200], s[24:25]
	v_mul_f64 v[237:238], v[197:198], s[24:25]
	v_add_f64 v[148:149], v[148:149], v[174:175]
	v_add_f64 v[148:149], v[148:149], v[166:167]
	;; [unrolled: 1-line block ×8, first 2 shown]
	v_mul_f64 v[184:185], v[197:198], s[16:17]
	v_fma_f64 v[186:187], v[223:224], s[18:19], -v[184:185]
	v_fma_f64 v[184:185], v[223:224], s[18:19], v[184:185]
	v_add_f64 v[227:228], v[152:153], v[186:187]
	v_mul_f64 v[186:187], v[199:200], s[16:17]
	v_add_f64 v[231:232], v[152:153], v[184:185]
	v_fma_f64 v[184:185], v[225:226], s[18:19], -v[186:187]
	v_fma_f64 v[188:189], v[225:226], s[18:19], v[186:187]
	v_add_f64 v[233:234], v[154:155], v[184:185]
	v_mul_f64 v[184:185], v[197:198], s[12:13]
	v_add_f64 v[229:230], v[154:155], v[188:189]
	;; [unrolled: 5-line block ×5, first 2 shown]
	v_fma_f64 v[188:189], v[225:226], s[6:7], v[186:187]
	v_fma_f64 v[184:185], v[225:226], s[6:7], -v[186:187]
	v_mul_f64 v[186:187], v[197:198], s[20:21]
	v_fma_f64 v[197:198], v[223:224], s[26:27], -v[237:238]
	v_add_f64 v[201:202], v[154:155], v[188:189]
	v_add_f64 v[205:206], v[154:155], v[184:185]
	v_fma_f64 v[184:185], v[223:224], s[22:23], -v[186:187]
	v_mul_f64 v[188:189], v[199:200], s[20:21]
	v_fma_f64 v[186:187], v[223:224], s[22:23], v[186:187]
	v_fma_f64 v[223:224], v[223:224], s[26:27], v[237:238]
	v_add_f64 v[197:198], v[152:153], v[197:198]
	v_fma_f64 v[199:200], v[225:226], s[26:27], v[239:240]
	v_add_f64 v[213:214], v[152:153], v[184:185]
	v_fma_f64 v[184:185], v[225:226], s[22:23], v[188:189]
	v_add_f64 v[186:187], v[152:153], v[186:187]
	v_fma_f64 v[188:189], v[225:226], s[22:23], -v[188:189]
	v_add_f64 v[152:153], v[152:153], v[223:224]
	v_fma_f64 v[223:224], v[225:226], s[26:27], -v[239:240]
	v_add_f64 v[225:226], v[182:183], v[211:212]
	v_add_f64 v[182:183], v[182:183], -v[211:212]
	v_add_f64 v[199:200], v[154:155], v[199:200]
	v_add_f64 v[184:185], v[154:155], v[184:185]
	;; [unrolled: 1-line block ×5, first 2 shown]
	v_add_f64 v[180:181], v[180:181], -v[209:210]
	v_mul_f64 v[209:210], v[182:183], s[12:13]
	v_fma_f64 v[211:212], v[223:224], s[14:15], -v[209:210]
	v_fma_f64 v[209:210], v[223:224], s[14:15], v[209:210]
	v_add_f64 v[211:212], v[211:212], v[227:228]
	v_mul_f64 v[227:228], v[180:181], s[12:13]
	v_add_f64 v[209:210], v[209:210], v[231:232]
	v_mul_f64 v[231:232], v[182:183], s[20:21]
	v_fma_f64 v[237:238], v[225:226], s[14:15], v[227:228]
	v_fma_f64 v[227:228], v[225:226], s[14:15], -v[227:228]
	v_add_f64 v[229:230], v[237:238], v[229:230]
	v_add_f64 v[227:228], v[227:228], v[233:234]
	v_fma_f64 v[233:234], v[223:224], s[22:23], -v[231:232]
	v_fma_f64 v[231:232], v[223:224], s[22:23], v[231:232]
	v_add_f64 v[233:234], v[233:234], v[235:236]
	v_mul_f64 v[235:236], v[180:181], s[20:21]
	v_add_f64 v[193:194], v[231:232], v[193:194]
	v_fma_f64 v[231:232], v[225:226], s[22:23], -v[235:236]
	v_fma_f64 v[237:238], v[225:226], s[22:23], v[235:236]
	v_add_f64 v[195:196], v[231:232], v[195:196]
	v_mul_f64 v[231:232], v[182:183], s[30:31]
	;; [unrolled: 5-line block ×4, first 2 shown]
	v_mul_f64 v[182:183], v[182:183], s[34:35]
	v_add_f64 v[201:202], v[237:238], v[201:202]
	v_fma_f64 v[235:236], v[223:224], s[6:7], -v[231:232]
	v_fma_f64 v[231:232], v[223:224], s[6:7], v[231:232]
	v_add_f64 v[213:214], v[235:236], v[213:214]
	v_mul_f64 v[235:236], v[180:181], s[28:29]
	v_add_f64 v[186:187], v[231:232], v[186:187]
	v_mul_f64 v[180:181], v[180:181], s[34:35]
	v_fma_f64 v[231:232], v[225:226], s[6:7], -v[235:236]
	v_fma_f64 v[237:238], v[225:226], s[6:7], v[235:236]
	v_add_f64 v[188:189], v[231:232], v[188:189]
	v_fma_f64 v[231:232], v[223:224], s[18:19], -v[182:183]
	v_fma_f64 v[182:183], v[223:224], s[18:19], v[182:183]
	v_add_f64 v[184:185], v[237:238], v[184:185]
	v_add_f64 v[197:198], v[231:232], v[197:198]
	v_fma_f64 v[231:232], v[225:226], s[18:19], v[180:181]
	v_add_f64 v[152:153], v[182:183], v[152:153]
	v_fma_f64 v[180:181], v[225:226], s[18:19], -v[180:181]
	v_add_f64 v[182:183], v[172:173], v[176:177]
	v_add_f64 v[172:173], v[172:173], -v[176:177]
	v_add_f64 v[199:200], v[231:232], v[199:200]
	v_add_f64 v[154:155], v[180:181], v[154:155]
	;; [unrolled: 1-line block ×3, first 2 shown]
	v_mul_f64 v[176:177], v[172:173], s[4:5]
	v_add_f64 v[174:175], v[174:175], -v[178:179]
	v_fma_f64 v[178:179], v[180:181], s[6:7], -v[176:177]
	v_fma_f64 v[176:177], v[180:181], s[6:7], v[176:177]
	v_add_f64 v[178:179], v[178:179], v[211:212]
	v_mul_f64 v[211:212], v[174:175], s[4:5]
	v_add_f64 v[176:177], v[176:177], v[209:210]
	v_fma_f64 v[223:224], v[182:183], s[6:7], v[211:212]
	v_fma_f64 v[209:210], v[182:183], s[6:7], -v[211:212]
	v_mul_f64 v[211:212], v[172:173], s[30:31]
	v_add_f64 v[223:224], v[223:224], v[229:230]
	v_add_f64 v[209:210], v[209:210], v[227:228]
	v_fma_f64 v[225:226], v[180:181], s[26:27], -v[211:212]
	v_mul_f64 v[227:228], v[174:175], s[30:31]
	v_fma_f64 v[211:212], v[180:181], s[26:27], v[211:212]
	v_add_f64 v[225:226], v[225:226], v[233:234]
	v_fma_f64 v[229:230], v[182:183], s[26:27], v[227:228]
	v_add_f64 v[193:194], v[211:212], v[193:194]
	v_fma_f64 v[211:212], v[182:183], s[26:27], -v[227:228]
	v_add_f64 v[190:191], v[229:230], v[190:191]
	v_add_f64 v[195:196], v[211:212], v[195:196]
	v_mul_f64 v[211:212], v[172:173], s[36:37]
	v_fma_f64 v[227:228], v[180:181], s[14:15], -v[211:212]
	v_fma_f64 v[211:212], v[180:181], s[14:15], v[211:212]
	v_add_f64 v[207:208], v[227:228], v[207:208]
	v_mul_f64 v[227:228], v[174:175], s[36:37]
	v_add_f64 v[203:204], v[211:212], v[203:204]
	v_fma_f64 v[211:212], v[182:183], s[14:15], -v[227:228]
	v_fma_f64 v[229:230], v[182:183], s[14:15], v[227:228]
	v_add_f64 v[205:206], v[211:212], v[205:206]
	v_mul_f64 v[211:212], v[172:173], s[16:17]
	v_mul_f64 v[172:173], v[172:173], s[20:21]
	v_add_f64 v[201:202], v[229:230], v[201:202]
	v_fma_f64 v[227:228], v[180:181], s[18:19], -v[211:212]
	v_fma_f64 v[211:212], v[180:181], s[18:19], v[211:212]
	v_add_f64 v[213:214], v[227:228], v[213:214]
	v_mul_f64 v[227:228], v[174:175], s[16:17]
	v_add_f64 v[186:187], v[211:212], v[186:187]
	v_mul_f64 v[174:175], v[174:175], s[20:21]
	v_fma_f64 v[211:212], v[182:183], s[18:19], -v[227:228]
	v_fma_f64 v[229:230], v[182:183], s[18:19], v[227:228]
	v_add_f64 v[227:228], v[156:157], -v[158:159]
	v_add_f64 v[188:189], v[211:212], v[188:189]
	v_fma_f64 v[211:212], v[180:181], s[22:23], -v[172:173]
	v_fma_f64 v[172:173], v[180:181], s[22:23], v[172:173]
	v_add_f64 v[184:185], v[229:230], v[184:185]
	v_add_f64 v[197:198], v[211:212], v[197:198]
	v_fma_f64 v[211:212], v[182:183], s[22:23], v[174:175]
	v_add_f64 v[152:153], v[172:173], v[152:153]
	v_fma_f64 v[172:173], v[182:183], s[22:23], -v[174:175]
	v_add_f64 v[174:175], v[164:165], v[168:169]
	v_add_f64 v[164:165], v[164:165], -v[168:169]
	v_add_f64 v[199:200], v[211:212], v[199:200]
	v_add_f64 v[154:155], v[172:173], v[154:155]
	;; [unrolled: 1-line block ×3, first 2 shown]
	v_mul_f64 v[168:169], v[164:165], s[20:21]
	v_add_f64 v[166:167], v[166:167], -v[170:171]
	v_fma_f64 v[170:171], v[172:173], s[22:23], -v[168:169]
	v_fma_f64 v[168:169], v[172:173], s[22:23], v[168:169]
	v_add_f64 v[170:171], v[170:171], v[178:179]
	v_mul_f64 v[178:179], v[166:167], s[20:21]
	v_add_f64 v[168:169], v[168:169], v[176:177]
	v_fma_f64 v[180:181], v[174:175], s[22:23], v[178:179]
	v_fma_f64 v[176:177], v[174:175], s[22:23], -v[178:179]
	v_mul_f64 v[178:179], v[164:165], s[28:29]
	v_add_f64 v[180:181], v[180:181], v[223:224]
	v_add_f64 v[176:177], v[176:177], v[209:210]
	v_fma_f64 v[182:183], v[172:173], s[6:7], -v[178:179]
	v_mul_f64 v[209:210], v[166:167], s[28:29]
	v_fma_f64 v[178:179], v[172:173], s[6:7], v[178:179]
	v_add_f64 v[223:224], v[156:157], v[158:159]
	v_mul_f64 v[156:157], v[227:228], s[24:25]
	v_add_f64 v[182:183], v[182:183], v[225:226]
	v_fma_f64 v[211:212], v[174:175], s[6:7], v[209:210]
	v_add_f64 v[178:179], v[178:179], v[193:194]
	v_fma_f64 v[193:194], v[174:175], s[6:7], -v[209:210]
	v_add_f64 v[225:226], v[160:161], -v[162:163]
	v_add_f64 v[190:191], v[211:212], v[190:191]
	v_add_f64 v[193:194], v[193:194], v[195:196]
	v_mul_f64 v[195:196], v[164:165], s[16:17]
	v_mul_f64 v[158:159], v[225:226], s[24:25]
	v_fma_f64 v[209:210], v[172:173], s[18:19], -v[195:196]
	v_fma_f64 v[195:196], v[172:173], s[18:19], v[195:196]
	v_add_f64 v[207:208], v[209:210], v[207:208]
	v_mul_f64 v[209:210], v[166:167], s[16:17]
	v_add_f64 v[195:196], v[195:196], v[203:204]
	v_fma_f64 v[203:204], v[174:175], s[18:19], -v[209:210]
	v_fma_f64 v[211:212], v[174:175], s[18:19], v[209:210]
	v_add_f64 v[203:204], v[203:204], v[205:206]
	v_mul_f64 v[205:206], v[164:165], s[24:25]
	v_add_f64 v[201:202], v[211:212], v[201:202]
	v_mul_f64 v[211:212], v[166:167], s[24:25]
	v_mul_f64 v[164:165], v[164:165], s[36:37]
	v_mul_f64 v[166:167], v[166:167], s[36:37]
	v_fma_f64 v[209:210], v[172:173], s[26:27], -v[205:206]
	v_fma_f64 v[205:206], v[172:173], s[26:27], v[205:206]
	v_add_f64 v[209:210], v[209:210], v[213:214]
	v_add_f64 v[186:187], v[205:206], v[186:187]
	v_fma_f64 v[205:206], v[174:175], s[26:27], -v[211:212]
	v_fma_f64 v[213:214], v[174:175], s[26:27], v[211:212]
	v_add_f64 v[188:189], v[205:206], v[188:189]
	v_fma_f64 v[205:206], v[172:173], s[14:15], -v[164:165]
	v_fma_f64 v[164:165], v[172:173], s[14:15], v[164:165]
	v_add_f64 v[184:185], v[213:214], v[184:185]
	v_add_f64 v[213:214], v[160:161], v[162:163]
	v_mul_f64 v[172:173], v[227:228], s[20:21]
	v_add_f64 v[197:198], v[205:206], v[197:198]
	v_fma_f64 v[205:206], v[174:175], s[14:15], v[166:167]
	v_add_f64 v[199:200], v[205:206], v[199:200]
	v_add_f64 v[205:206], v[164:165], v[152:153]
	v_mul_f64 v[164:165], v[227:228], s[34:35]
	v_fma_f64 v[152:153], v[174:175], s[14:15], -v[166:167]
	v_mul_f64 v[166:167], v[225:226], s[34:35]
	v_mul_f64 v[174:175], v[225:226], s[20:21]
	v_fma_f64 v[160:161], v[213:214], s[18:19], -v[164:165]
	v_add_f64 v[211:212], v[152:153], v[154:155]
	v_fma_f64 v[154:155], v[223:224], s[26:27], v[158:159]
	v_fma_f64 v[164:165], v[213:214], s[18:19], v[164:165]
	v_fma_f64 v[158:159], v[223:224], s[26:27], -v[158:159]
	v_fma_f64 v[162:163], v[223:224], s[18:19], v[166:167]
	v_fma_f64 v[152:153], v[213:214], s[26:27], -v[156:157]
	v_fma_f64 v[156:157], v[213:214], s[26:27], v[156:157]
	v_add_f64 v[160:161], v[160:161], v[182:183]
	v_mul_f64 v[182:183], v[225:226], s[36:37]
	v_add_f64 v[154:155], v[154:155], v[180:181]
	v_add_f64 v[164:165], v[164:165], v[178:179]
	v_mul_f64 v[180:181], v[227:228], s[36:37]
	v_add_f64 v[158:159], v[158:159], v[176:177]
	;; [unrolled: 3-line block ×3, first 2 shown]
	v_fma_f64 v[178:179], v[223:224], s[14:15], v[182:183]
	v_fma_f64 v[182:183], v[223:224], s[14:15], -v[182:183]
	v_add_f64 v[156:157], v[156:157], v[168:169]
	v_fma_f64 v[176:177], v[213:214], s[14:15], -v[180:181]
	v_fma_f64 v[180:181], v[213:214], s[14:15], v[180:181]
	v_fma_f64 v[168:169], v[213:214], s[22:23], -v[172:173]
	v_fma_f64 v[170:171], v[223:224], s[22:23], v[174:175]
	v_fma_f64 v[166:167], v[223:224], s[18:19], -v[166:167]
	v_add_f64 v[178:179], v[178:179], v[184:185]
	v_add_f64 v[182:183], v[182:183], v[188:189]
	v_mul_f64 v[188:189], v[227:228], s[4:5]
	v_fma_f64 v[172:173], v[213:214], s[22:23], v[172:173]
	v_add_f64 v[180:181], v[180:181], v[186:187]
	v_fma_f64 v[186:187], v[223:224], s[6:7], v[190:191]
	v_fma_f64 v[190:191], v[223:224], s[6:7], -v[190:191]
	v_fma_f64 v[174:175], v[223:224], s[22:23], -v[174:175]
	v_add_f64 v[168:169], v[168:169], v[207:208]
	v_add_f64 v[170:171], v[170:171], v[201:202]
	v_fma_f64 v[184:185], v[213:214], s[6:7], -v[188:189]
	v_fma_f64 v[188:189], v[213:214], s[6:7], v[188:189]
	v_add_f64 v[176:177], v[176:177], v[209:210]
	v_add_f64 v[186:187], v[186:187], v[199:200]
	;; [unrolled: 1-line block ×8, first 2 shown]
	ds_write_b128 v215, v[148:151]
	ds_write_b128 v215, v[152:155] offset:880
	ds_write_b128 v215, v[160:163] offset:1760
	;; [unrolled: 1-line block ×10, first 2 shown]
	v_add_co_u32_e64 v160, s[0:1], s0, v221
	v_addc_co_u32_e64 v161, s[0:1], 0, v222, s[0:1]
	s_movk_i32 s0, 0x2000
	v_add_co_u32_e64 v152, s[0:1], s0, v221
	v_addc_co_u32_e64 v153, s[0:1], 0, v222, s[0:1]
	s_waitcnt lgkmcnt(0)
	; wave barrier
	s_waitcnt lgkmcnt(0)
	global_load_dwordx4 v[152:155], v[152:153], off offset:1488
	ds_read_b128 v[148:151], v215
	s_movk_i32 s0, 0x3000
	s_waitcnt vmcnt(0) lgkmcnt(0)
	v_mul_f64 v[156:157], v[150:151], v[154:155]
	v_fma_f64 v[156:157], v[148:149], v[152:153], -v[156:157]
	v_mul_f64 v[148:149], v[148:149], v[154:155]
	v_fma_f64 v[158:159], v[150:151], v[152:153], v[148:149]
	global_load_dwordx4 v[152:155], v[160:161], off offset:880
	ds_read_b128 v[148:151], v215 offset:880
	ds_write_b128 v215, v[156:159]
	s_waitcnt vmcnt(0) lgkmcnt(1)
	v_mul_f64 v[156:157], v[150:151], v[154:155]
	v_fma_f64 v[156:157], v[148:149], v[152:153], -v[156:157]
	v_mul_f64 v[148:149], v[148:149], v[154:155]
	v_fma_f64 v[158:159], v[150:151], v[152:153], v[148:149]
	global_load_dwordx4 v[152:155], v[160:161], off offset:1760
	ds_read_b128 v[148:151], v215 offset:1760
	ds_write_b128 v215, v[156:159] offset:880
	s_waitcnt vmcnt(0) lgkmcnt(1)
	v_mul_f64 v[156:157], v[150:151], v[154:155]
	v_fma_f64 v[156:157], v[148:149], v[152:153], -v[156:157]
	v_mul_f64 v[148:149], v[148:149], v[154:155]
	v_fma_f64 v[158:159], v[150:151], v[152:153], v[148:149]
	global_load_dwordx4 v[152:155], v[160:161], off offset:2640
	ds_read_b128 v[148:151], v215 offset:2640
	ds_write_b128 v215, v[156:159] offset:1760
	s_waitcnt vmcnt(0) lgkmcnt(1)
	v_mul_f64 v[156:157], v[150:151], v[154:155]
	v_fma_f64 v[156:157], v[148:149], v[152:153], -v[156:157]
	v_mul_f64 v[148:149], v[148:149], v[154:155]
	v_fma_f64 v[158:159], v[150:151], v[152:153], v[148:149]
	global_load_dwordx4 v[152:155], v[160:161], off offset:3520
	ds_read_b128 v[148:151], v215 offset:3520
	v_add_co_u32_e64 v160, s[0:1], s0, v221
	v_addc_co_u32_e64 v161, s[0:1], 0, v222, s[0:1]
	s_movk_i32 s0, 0x4000
	ds_write_b128 v215, v[156:159] offset:2640
	s_waitcnt vmcnt(0) lgkmcnt(1)
	v_mul_f64 v[156:157], v[150:151], v[154:155]
	v_fma_f64 v[156:157], v[148:149], v[152:153], -v[156:157]
	v_mul_f64 v[148:149], v[148:149], v[154:155]
	v_fma_f64 v[158:159], v[150:151], v[152:153], v[148:149]
	global_load_dwordx4 v[152:155], v[160:161], off offset:1792
	ds_read_b128 v[148:151], v215 offset:4400
	ds_write_b128 v215, v[156:159] offset:3520
	s_waitcnt vmcnt(0) lgkmcnt(1)
	v_mul_f64 v[156:157], v[150:151], v[154:155]
	v_fma_f64 v[156:157], v[148:149], v[152:153], -v[156:157]
	v_mul_f64 v[148:149], v[148:149], v[154:155]
	v_fma_f64 v[158:159], v[150:151], v[152:153], v[148:149]
	global_load_dwordx4 v[152:155], v[160:161], off offset:2672
	ds_read_b128 v[148:151], v215 offset:5280
	;; [unrolled: 8-line block ×3, first 2 shown]
	v_add_co_u32_e64 v160, s[0:1], s0, v221
	v_addc_co_u32_e64 v161, s[0:1], 0, v222, s[0:1]
	s_mov_b32 s1, 0x3fe82f19
	ds_write_b128 v215, v[156:159] offset:5280
	s_mov_b32 s0, s20
	s_waitcnt vmcnt(0) lgkmcnt(1)
	v_mul_f64 v[156:157], v[150:151], v[154:155]
	v_fma_f64 v[156:157], v[148:149], v[152:153], -v[156:157]
	v_mul_f64 v[148:149], v[148:149], v[154:155]
	v_fma_f64 v[158:159], v[150:151], v[152:153], v[148:149]
	global_load_dwordx4 v[152:155], v[160:161], off offset:336
	ds_read_b128 v[148:151], v215 offset:7040
	ds_write_b128 v215, v[156:159] offset:6160
	s_waitcnt vmcnt(0) lgkmcnt(1)
	v_mul_f64 v[156:157], v[150:151], v[154:155]
	v_fma_f64 v[156:157], v[148:149], v[152:153], -v[156:157]
	v_mul_f64 v[148:149], v[148:149], v[154:155]
	v_fma_f64 v[158:159], v[150:151], v[152:153], v[148:149]
	global_load_dwordx4 v[152:155], v[160:161], off offset:1216
	ds_read_b128 v[148:151], v215 offset:7920
	ds_write_b128 v215, v[156:159] offset:7040
	;; [unrolled: 8-line block ×3, first 2 shown]
	s_waitcnt vmcnt(0) lgkmcnt(1)
	v_mul_f64 v[156:157], v[150:151], v[154:155]
	v_fma_f64 v[156:157], v[148:149], v[152:153], -v[156:157]
	v_mul_f64 v[148:149], v[148:149], v[154:155]
	v_fma_f64 v[158:159], v[150:151], v[152:153], v[148:149]
	ds_write_b128 v215, v[156:159] offset:8800
	s_waitcnt lgkmcnt(0)
	; wave barrier
	s_waitcnt lgkmcnt(0)
	ds_read_b128 v[176:179], v215
	ds_read_b128 v[180:183], v215 offset:880
	ds_read_b128 v[184:187], v215 offset:1760
	ds_read_b128 v[168:171], v215 offset:2640
	ds_read_b128 v[160:163], v215 offset:3520
	ds_read_b128 v[152:155], v215 offset:4400
	ds_read_b128 v[156:159], v215 offset:5280
	ds_read_b128 v[164:167], v215 offset:6160
	ds_read_b128 v[172:175], v215 offset:7040
	ds_read_b128 v[188:191], v215 offset:7920
	ds_read_b128 v[193:196], v215 offset:8800
	s_waitcnt lgkmcnt(9)
	v_add_f64 v[148:149], v[176:177], v[180:181]
	v_add_f64 v[150:151], v[178:179], v[182:183]
	s_waitcnt lgkmcnt(0)
	; wave barrier
	s_waitcnt lgkmcnt(0)
	v_add_f64 v[199:200], v[182:183], v[195:196]
	v_add_f64 v[182:183], v[182:183], -v[195:196]
	v_add_f64 v[197:198], v[180:181], v[193:194]
	v_add_f64 v[180:181], v[180:181], -v[193:194]
	v_add_f64 v[148:149], v[148:149], v[184:185]
	v_add_f64 v[150:151], v[150:151], v[186:187]
	v_mul_f64 v[201:202], v[199:200], s[18:19]
	v_mul_f64 v[205:206], v[182:183], s[12:13]
	;; [unrolled: 1-line block ×4, first 2 shown]
	v_add_f64 v[148:149], v[148:149], v[168:169]
	v_add_f64 v[150:151], v[150:151], v[170:171]
	v_mul_f64 v[209:210], v[199:200], s[14:15]
	v_mul_f64 v[223:224], v[199:200], s[6:7]
	;; [unrolled: 1-line block ×3, first 2 shown]
	v_fma_f64 v[207:208], v[197:198], s[14:15], v[205:206]
	v_fma_f64 v[205:206], v[197:198], s[14:15], -v[205:206]
	v_fma_f64 v[221:222], v[197:198], s[6:7], v[213:214]
	v_add_f64 v[148:149], v[148:149], v[160:161]
	v_add_f64 v[150:151], v[150:151], v[162:163]
	v_fma_f64 v[213:214], v[197:198], s[6:7], -v[213:214]
	v_fma_f64 v[229:230], v[197:198], s[22:23], v[227:228]
	v_fma_f64 v[227:228], v[197:198], s[22:23], -v[227:228]
	v_mul_f64 v[199:200], v[199:200], s[26:27]
	v_fma_f64 v[203:204], v[180:181], s[34:35], v[201:202]
	v_fma_f64 v[201:202], v[180:181], s[16:17], v[201:202]
	v_add_f64 v[148:149], v[148:149], v[152:153]
	v_add_f64 v[150:151], v[150:151], v[154:155]
	v_add_f64 v[207:208], v[176:177], v[207:208]
	v_fma_f64 v[211:212], v[180:181], s[36:37], v[209:210]
	v_add_f64 v[205:206], v[176:177], v[205:206]
	v_fma_f64 v[209:210], v[180:181], s[12:13], v[209:210]
	v_add_f64 v[221:222], v[176:177], v[221:222]
	;; [unrolled: 2-line block ×3, first 2 shown]
	v_add_f64 v[150:151], v[150:151], v[158:159]
	v_add_f64 v[213:214], v[176:177], v[213:214]
	v_fma_f64 v[223:224], v[180:181], s[4:5], v[223:224]
	v_add_f64 v[229:230], v[176:177], v[229:230]
	v_fma_f64 v[233:234], v[180:181], s[0:1], v[231:232]
	;; [unrolled: 2-line block ×3, first 2 shown]
	v_add_f64 v[148:149], v[148:149], v[164:165]
	v_add_f64 v[150:151], v[150:151], v[166:167]
	v_fma_f64 v[237:238], v[180:181], s[30:31], v[199:200]
	v_fma_f64 v[180:181], v[180:181], s[24:25], v[199:200]
	v_add_f64 v[203:204], v[178:179], v[203:204]
	v_add_f64 v[201:202], v[178:179], v[201:202]
	;; [unrolled: 1-line block ×15, first 2 shown]
	v_add_f64 v[184:185], v[184:185], -v[188:189]
	v_add_f64 v[148:149], v[148:149], v[193:194]
	v_mul_f64 v[193:194], v[182:183], s[16:17]
	v_mul_f64 v[182:183], v[182:183], s[24:25]
	v_add_f64 v[150:151], v[150:151], v[195:196]
	v_fma_f64 v[195:196], v[197:198], s[18:19], v[193:194]
	v_fma_f64 v[193:194], v[197:198], s[18:19], -v[193:194]
	v_fma_f64 v[235:236], v[197:198], s[26:27], v[182:183]
	v_fma_f64 v[182:183], v[197:198], s[26:27], -v[182:183]
	v_add_f64 v[195:196], v[176:177], v[195:196]
	v_add_f64 v[193:194], v[176:177], v[193:194]
	;; [unrolled: 1-line block ×5, first 2 shown]
	v_add_f64 v[186:187], v[186:187], -v[190:191]
	v_mul_f64 v[188:189], v[186:187], s[12:13]
	v_fma_f64 v[190:191], v[180:181], s[14:15], v[188:189]
	v_fma_f64 v[188:189], v[180:181], s[14:15], -v[188:189]
	v_add_f64 v[190:191], v[190:191], v[195:196]
	v_mul_f64 v[195:196], v[182:183], s[14:15]
	v_add_f64 v[188:189], v[188:189], v[193:194]
	v_fma_f64 v[197:198], v[184:185], s[36:37], v[195:196]
	v_fma_f64 v[193:194], v[184:185], s[12:13], v[195:196]
	v_mul_f64 v[195:196], v[186:187], s[20:21]
	v_add_f64 v[197:198], v[197:198], v[203:204]
	v_add_f64 v[193:194], v[193:194], v[201:202]
	v_fma_f64 v[199:200], v[180:181], s[22:23], v[195:196]
	v_fma_f64 v[195:196], v[180:181], s[22:23], -v[195:196]
	v_mul_f64 v[201:202], v[182:183], s[22:23]
	v_add_f64 v[199:200], v[199:200], v[207:208]
	v_add_f64 v[195:196], v[195:196], v[205:206]
	v_mul_f64 v[205:206], v[186:187], s[30:31]
	v_fma_f64 v[203:204], v[184:185], s[0:1], v[201:202]
	v_fma_f64 v[201:202], v[184:185], s[20:21], v[201:202]
	;; [unrolled: 1-line block ×3, first 2 shown]
	v_fma_f64 v[205:206], v[180:181], s[26:27], -v[205:206]
	v_add_f64 v[201:202], v[201:202], v[209:210]
	v_mul_f64 v[209:210], v[182:183], s[26:27]
	v_add_f64 v[203:204], v[203:204], v[211:212]
	v_add_f64 v[207:208], v[207:208], v[221:222]
	;; [unrolled: 1-line block ×3, first 2 shown]
	v_mul_f64 v[213:214], v[186:187], s[28:29]
	v_fma_f64 v[211:212], v[184:185], s[24:25], v[209:210]
	v_fma_f64 v[209:210], v[184:185], s[30:31], v[209:210]
	v_mul_f64 v[186:187], v[186:187], s[34:35]
	v_fma_f64 v[221:222], v[180:181], s[6:7], v[213:214]
	v_fma_f64 v[213:214], v[180:181], s[6:7], -v[213:214]
	v_add_f64 v[209:210], v[209:210], v[223:224]
	v_mul_f64 v[223:224], v[182:183], s[6:7]
	v_mul_f64 v[182:183], v[182:183], s[18:19]
	v_add_f64 v[211:212], v[211:212], v[225:226]
	v_add_f64 v[221:222], v[221:222], v[229:230]
	;; [unrolled: 1-line block ×3, first 2 shown]
	v_fma_f64 v[227:228], v[180:181], s[18:19], v[186:187]
	v_fma_f64 v[180:181], v[180:181], s[18:19], -v[186:187]
	v_fma_f64 v[229:230], v[184:185], s[16:17], v[182:183]
	v_fma_f64 v[225:226], v[184:185], s[4:5], v[223:224]
	;; [unrolled: 1-line block ×3, first 2 shown]
	v_add_f64 v[227:228], v[227:228], v[235:236]
	v_add_f64 v[176:177], v[180:181], v[176:177]
	v_fma_f64 v[180:181], v[184:185], s[34:35], v[182:183]
	v_add_f64 v[182:183], v[170:171], v[174:175]
	v_add_f64 v[170:171], v[170:171], -v[174:175]
	v_add_f64 v[225:226], v[225:226], v[233:234]
	v_add_f64 v[223:224], v[223:224], v[231:232]
	;; [unrolled: 1-line block ×5, first 2 shown]
	v_add_f64 v[168:169], v[168:169], -v[172:173]
	v_mul_f64 v[172:173], v[170:171], s[4:5]
	v_mul_f64 v[184:185], v[182:183], s[6:7]
	v_fma_f64 v[174:175], v[180:181], s[6:7], v[172:173]
	v_fma_f64 v[172:173], v[180:181], s[6:7], -v[172:173]
	v_fma_f64 v[186:187], v[168:169], s[28:29], v[184:185]
	v_fma_f64 v[184:185], v[168:169], s[4:5], v[184:185]
	v_add_f64 v[174:175], v[174:175], v[190:191]
	v_add_f64 v[172:173], v[172:173], v[188:189]
	v_mul_f64 v[188:189], v[170:171], s[30:31]
	v_add_f64 v[184:185], v[184:185], v[193:194]
	v_mul_f64 v[193:194], v[182:183], s[26:27]
	v_add_f64 v[186:187], v[186:187], v[197:198]
	v_fma_f64 v[190:191], v[180:181], s[26:27], v[188:189]
	v_fma_f64 v[188:189], v[180:181], s[26:27], -v[188:189]
	v_fma_f64 v[197:198], v[168:169], s[24:25], v[193:194]
	v_fma_f64 v[193:194], v[168:169], s[30:31], v[193:194]
	v_add_f64 v[190:191], v[190:191], v[199:200]
	v_add_f64 v[188:189], v[188:189], v[195:196]
	v_mul_f64 v[195:196], v[170:171], s[36:37]
	v_add_f64 v[193:194], v[193:194], v[201:202]
	v_mul_f64 v[201:202], v[182:183], s[14:15]
	v_add_f64 v[197:198], v[197:198], v[203:204]
	v_fma_f64 v[199:200], v[180:181], s[14:15], v[195:196]
	v_fma_f64 v[195:196], v[180:181], s[14:15], -v[195:196]
	v_fma_f64 v[203:204], v[168:169], s[12:13], v[201:202]
	v_fma_f64 v[201:202], v[168:169], s[36:37], v[201:202]
	v_add_f64 v[199:200], v[199:200], v[207:208]
	v_add_f64 v[195:196], v[195:196], v[205:206]
	v_mul_f64 v[205:206], v[170:171], s[16:17]
	v_add_f64 v[201:202], v[201:202], v[209:210]
	v_mul_f64 v[209:210], v[182:183], s[18:19]
	v_mul_f64 v[182:183], v[182:183], s[22:23]
	v_add_f64 v[203:204], v[203:204], v[211:212]
	v_mul_f64 v[170:171], v[170:171], s[20:21]
	v_fma_f64 v[207:208], v[180:181], s[18:19], v[205:206]
	v_fma_f64 v[205:206], v[180:181], s[18:19], -v[205:206]
	v_fma_f64 v[211:212], v[168:169], s[34:35], v[209:210]
	v_fma_f64 v[209:210], v[168:169], s[16:17], v[209:210]
	v_add_f64 v[207:208], v[207:208], v[221:222]
	v_fma_f64 v[221:222], v[168:169], s[0:1], v[182:183]
	v_fma_f64 v[168:169], v[168:169], s[20:21], v[182:183]
	v_add_f64 v[205:206], v[205:206], v[213:214]
	v_fma_f64 v[213:214], v[180:181], s[22:23], v[170:171]
	v_fma_f64 v[170:171], v[180:181], s[22:23], -v[170:171]
	v_add_f64 v[211:212], v[211:212], v[225:226]
	v_add_f64 v[225:226], v[154:155], -v[158:159]
	v_add_f64 v[209:210], v[209:210], v[223:224]
	v_add_f64 v[221:222], v[221:222], v[229:230]
	;; [unrolled: 1-line block ×4, first 2 shown]
	v_add_f64 v[162:163], v[162:163], -v[166:167]
	v_add_f64 v[170:171], v[170:171], v[176:177]
	v_add_f64 v[176:177], v[160:161], v[164:165]
	v_add_f64 v[160:161], v[160:161], -v[164:165]
	v_add_f64 v[213:214], v[213:214], v[227:228]
	v_add_f64 v[223:224], v[152:153], -v[156:157]
	v_mul_f64 v[164:165], v[162:163], s[20:21]
	v_fma_f64 v[166:167], v[176:177], s[22:23], v[164:165]
	v_fma_f64 v[164:165], v[176:177], s[22:23], -v[164:165]
	v_add_f64 v[166:167], v[166:167], v[174:175]
	v_mul_f64 v[174:175], v[178:179], s[22:23]
	v_add_f64 v[164:165], v[164:165], v[172:173]
	v_fma_f64 v[180:181], v[160:161], s[0:1], v[174:175]
	v_fma_f64 v[172:173], v[160:161], s[20:21], v[174:175]
	v_mul_f64 v[174:175], v[162:163], s[28:29]
	v_add_f64 v[180:181], v[180:181], v[186:187]
	v_add_f64 v[172:173], v[172:173], v[184:185]
	v_fma_f64 v[182:183], v[176:177], s[6:7], v[174:175]
	v_fma_f64 v[174:175], v[176:177], s[6:7], -v[174:175]
	v_mul_f64 v[184:185], v[178:179], s[6:7]
	v_add_f64 v[182:183], v[182:183], v[190:191]
	v_add_f64 v[174:175], v[174:175], v[188:189]
	v_mul_f64 v[188:189], v[162:163], s[16:17]
	v_fma_f64 v[186:187], v[160:161], s[4:5], v[184:185]
	v_fma_f64 v[184:185], v[160:161], s[28:29], v[184:185]
	v_fma_f64 v[190:191], v[176:177], s[18:19], v[188:189]
	v_fma_f64 v[188:189], v[176:177], s[18:19], -v[188:189]
	v_add_f64 v[184:185], v[184:185], v[193:194]
	v_mul_f64 v[193:194], v[178:179], s[18:19]
	v_add_f64 v[186:187], v[186:187], v[197:198]
	v_add_f64 v[190:191], v[190:191], v[199:200]
	;; [unrolled: 1-line block ×3, first 2 shown]
	v_mul_f64 v[195:196], v[162:163], s[24:25]
	v_fma_f64 v[197:198], v[160:161], s[34:35], v[193:194]
	v_fma_f64 v[193:194], v[160:161], s[16:17], v[193:194]
	v_mul_f64 v[162:163], v[162:163], s[36:37]
	v_fma_f64 v[199:200], v[176:177], s[26:27], v[195:196]
	v_fma_f64 v[195:196], v[176:177], s[26:27], -v[195:196]
	v_add_f64 v[193:194], v[193:194], v[201:202]
	v_mul_f64 v[201:202], v[178:179], s[26:27]
	v_mul_f64 v[178:179], v[178:179], s[14:15]
	v_add_f64 v[197:198], v[197:198], v[203:204]
	v_add_f64 v[199:200], v[199:200], v[207:208]
	;; [unrolled: 1-line block ×3, first 2 shown]
	v_fma_f64 v[205:206], v[176:177], s[14:15], v[162:163]
	v_fma_f64 v[203:204], v[160:161], s[30:31], v[201:202]
	;; [unrolled: 1-line block ×5, first 2 shown]
	v_fma_f64 v[162:163], v[176:177], s[14:15], -v[162:163]
	v_add_f64 v[205:206], v[205:206], v[213:214]
	v_add_f64 v[213:214], v[152:153], v[156:157]
	v_mul_f64 v[152:153], v[225:226], s[24:25]
	v_add_f64 v[207:208], v[207:208], v[221:222]
	v_add_f64 v[221:222], v[154:155], v[158:159]
	;; [unrolled: 1-line block ×6, first 2 shown]
	v_fma_f64 v[154:155], v[213:214], s[26:27], v[152:153]
	v_fma_f64 v[152:153], v[213:214], s[26:27], -v[152:153]
	v_add_f64 v[156:157], v[154:155], v[166:167]
	v_mul_f64 v[154:155], v[221:222], s[26:27]
	v_add_f64 v[152:153], v[152:153], v[164:165]
	v_mul_f64 v[164:165], v[225:226], s[34:35]
	v_mul_f64 v[166:167], v[221:222], s[18:19]
	v_fma_f64 v[158:159], v[223:224], s[30:31], v[154:155]
	v_fma_f64 v[154:155], v[223:224], s[24:25], v[154:155]
	;; [unrolled: 1-line block ×3, first 2 shown]
	v_fma_f64 v[164:165], v[213:214], s[18:19], -v[164:165]
	v_fma_f64 v[162:163], v[223:224], s[16:17], v[166:167]
	v_fma_f64 v[166:167], v[223:224], s[34:35], v[166:167]
	v_add_f64 v[158:159], v[158:159], v[180:181]
	v_add_f64 v[154:155], v[154:155], v[172:173]
	v_mul_f64 v[172:173], v[225:226], s[20:21]
	v_add_f64 v[164:165], v[164:165], v[174:175]
	v_mul_f64 v[174:175], v[221:222], s[22:23]
	;; [unrolled: 2-line block ×3, first 2 shown]
	v_mul_f64 v[182:183], v[221:222], s[14:15]
	v_add_f64 v[162:163], v[162:163], v[186:187]
	v_add_f64 v[166:167], v[166:167], v[184:185]
	v_fma_f64 v[168:169], v[213:214], s[22:23], v[172:173]
	v_fma_f64 v[172:173], v[213:214], s[22:23], -v[172:173]
	v_fma_f64 v[170:171], v[223:224], s[0:1], v[174:175]
	v_fma_f64 v[174:175], v[223:224], s[20:21], v[174:175]
	;; [unrolled: 1-line block ×4, first 2 shown]
	v_fma_f64 v[180:181], v[213:214], s[14:15], -v[180:181]
	v_fma_f64 v[182:183], v[223:224], s[36:37], v[182:183]
	v_add_f64 v[168:169], v[168:169], v[190:191]
	v_add_f64 v[172:173], v[172:173], v[188:189]
	v_mul_f64 v[188:189], v[225:226], s[4:5]
	v_mul_f64 v[190:191], v[221:222], s[6:7]
	v_add_f64 v[170:171], v[170:171], v[197:198]
	v_add_f64 v[176:177], v[176:177], v[199:200]
	;; [unrolled: 1-line block ×6, first 2 shown]
	v_fma_f64 v[184:185], v[213:214], s[6:7], v[188:189]
	v_fma_f64 v[186:187], v[223:224], s[28:29], v[190:191]
	v_fma_f64 v[188:189], v[213:214], s[6:7], -v[188:189]
	v_fma_f64 v[190:191], v[223:224], s[4:5], v[190:191]
	v_add_f64 v[184:185], v[184:185], v[205:206]
	v_add_f64 v[186:187], v[186:187], v[207:208]
	;; [unrolled: 1-line block ×4, first 2 shown]
	ds_write_b128 v218, v[148:151]
	ds_write_b128 v218, v[156:159] offset:16
	ds_write_b128 v218, v[160:163] offset:32
	;; [unrolled: 1-line block ×10, first 2 shown]
	s_waitcnt lgkmcnt(0)
	; wave barrier
	s_waitcnt lgkmcnt(0)
	ds_read_b128 v[156:159], v215
	ds_read_b128 v[188:191], v215 offset:1936
	ds_read_b128 v[184:187], v215 offset:3872
	;; [unrolled: 1-line block ×9, first 2 shown]
	s_and_saveexec_b64 s[0:1], vcc
	s_cbranch_execz .LBB0_7
; %bb.6:
	ds_read_b128 v[152:155], v215 offset:1760
	ds_read_b128 v[112:115], v215 offset:3696
	;; [unrolled: 1-line block ×5, first 2 shown]
.LBB0_7:
	s_or_b64 exec, exec, s[0:1]
	s_waitcnt lgkmcnt(8)
	v_mul_f64 v[193:194], v[78:79], v[190:191]
	v_mul_f64 v[78:79], v[78:79], v[188:189]
	s_waitcnt lgkmcnt(7)
	v_mul_f64 v[195:196], v[74:75], v[186:187]
	v_mul_f64 v[74:75], v[74:75], v[184:185]
	s_waitcnt lgkmcnt(6)
	v_mul_f64 v[197:198], v[70:71], v[182:183]
	v_mul_f64 v[70:71], v[70:71], v[180:181]
	s_waitcnt lgkmcnt(5)
	v_mul_f64 v[199:200], v[66:67], v[178:179]
	v_mul_f64 v[66:67], v[66:67], v[176:177]
	v_fma_f64 v[188:189], v[76:77], v[188:189], v[193:194]
	v_fma_f64 v[78:79], v[76:77], v[190:191], -v[78:79]
	v_fma_f64 v[76:77], v[72:73], v[184:185], v[195:196]
	v_fma_f64 v[74:75], v[72:73], v[186:187], -v[74:75]
	;; [unrolled: 2-line block ×3, first 2 shown]
	s_waitcnt lgkmcnt(3)
	v_mul_f64 v[68:69], v[90:91], v[170:171]
	v_fma_f64 v[176:177], v[64:65], v[176:177], v[199:200]
	v_fma_f64 v[66:67], v[64:65], v[178:179], -v[66:67]
	v_mul_f64 v[64:65], v[90:91], v[168:169]
	s_waitcnt lgkmcnt(2)
	v_mul_f64 v[90:91], v[86:87], v[174:175]
	v_mul_f64 v[86:87], v[86:87], v[172:173]
	v_add_f64 v[180:181], v[76:77], v[72:73]
	v_add_f64 v[178:179], v[156:157], v[188:189]
	v_fma_f64 v[168:169], v[88:89], v[168:169], v[68:69]
	s_waitcnt lgkmcnt(1)
	v_mul_f64 v[68:69], v[82:83], v[166:167]
	v_mul_f64 v[82:83], v[82:83], v[164:165]
	v_fma_f64 v[88:89], v[88:89], v[170:171], -v[64:65]
	v_fma_f64 v[90:91], v[84:85], v[172:173], v[90:91]
	v_fma_f64 v[86:87], v[84:85], v[174:175], -v[86:87]
	v_fma_f64 v[84:85], v[180:181], -0.5, v[156:157]
	v_add_f64 v[170:171], v[78:79], -v[66:67]
	s_mov_b32 s0, 0x134454ff
	s_mov_b32 s1, 0xbfee6f0e
	v_add_f64 v[64:65], v[178:179], v[76:77]
	v_fma_f64 v[164:165], v[80:81], v[164:165], v[68:69]
	v_fma_f64 v[82:83], v[80:81], v[166:167], -v[82:83]
	s_waitcnt lgkmcnt(0)
	v_mul_f64 v[68:69], v[62:63], v[162:163]
	v_mul_f64 v[62:63], v[62:63], v[160:161]
	v_fma_f64 v[80:81], v[170:171], s[0:1], v[84:85]
	v_add_f64 v[166:167], v[74:75], -v[70:71]
	s_mov_b32 s6, 0x4755a5e
	s_mov_b32 s7, 0xbfe2cf23
	;; [unrolled: 1-line block ×4, first 2 shown]
	v_add_f64 v[64:65], v[64:65], v[72:73]
	v_add_f64 v[172:173], v[188:189], -v[76:77]
	v_add_f64 v[174:175], v[176:177], -v[72:73]
	v_add_f64 v[178:179], v[188:189], v[176:177]
	v_fma_f64 v[162:163], v[60:61], v[162:163], -v[62:63]
	v_fma_f64 v[62:63], v[166:167], s[6:7], v[80:81]
	v_fma_f64 v[80:81], v[170:171], s[14:15], v[84:85]
	v_add_f64 v[84:85], v[158:159], v[78:79]
	s_mov_b32 s13, 0x3fe2cf23
	s_mov_b32 s12, s6
	v_fma_f64 v[160:161], v[60:61], v[160:161], v[68:69]
	v_add_f64 v[60:61], v[64:65], v[176:177]
	v_add_f64 v[68:69], v[172:173], v[174:175]
	v_fma_f64 v[64:65], v[178:179], -0.5, v[156:157]
	v_fma_f64 v[80:81], v[166:167], s[12:13], v[80:81]
	v_add_f64 v[84:85], v[84:85], v[74:75]
	s_mov_b32 s4, 0x372fe950
	s_mov_b32 s5, 0x3fd3c6ef
	v_add_f64 v[156:157], v[74:75], v[70:71]
	v_add_f64 v[174:175], v[76:77], -v[188:189]
	v_add_f64 v[178:179], v[72:73], -v[176:177]
	v_fma_f64 v[172:173], v[166:167], s[14:15], v[64:65]
	v_fma_f64 v[166:167], v[166:167], s[0:1], v[64:65]
	;; [unrolled: 1-line block ×4, first 2 shown]
	v_add_f64 v[80:81], v[84:85], v[70:71]
	v_add_f64 v[84:85], v[78:79], v[66:67]
	v_fma_f64 v[156:157], v[156:157], -0.5, v[158:159]
	v_add_f64 v[176:177], v[188:189], -v[176:177]
	v_fma_f64 v[172:173], v[170:171], s[6:7], v[172:173]
	v_add_f64 v[174:175], v[174:175], v[178:179]
	v_fma_f64 v[62:63], v[170:171], s[12:13], v[166:167]
	v_add_f64 v[170:171], v[76:77], -v[72:73]
	v_add_f64 v[178:179], v[78:79], -v[74:75]
	;; [unrolled: 1-line block ×3, first 2 shown]
	v_fma_f64 v[84:85], v[84:85], -0.5, v[158:159]
	v_fma_f64 v[166:167], v[176:177], s[14:15], v[156:157]
	v_add_f64 v[158:159], v[148:149], v[168:169]
	v_fma_f64 v[156:157], v[176:177], s[0:1], v[156:157]
	v_fma_f64 v[72:73], v[174:175], s[4:5], v[172:173]
	;; [unrolled: 1-line block ×3, first 2 shown]
	v_add_f64 v[62:63], v[80:81], v[66:67]
	v_add_f64 v[174:175], v[178:179], v[180:181]
	v_fma_f64 v[178:179], v[170:171], s[0:1], v[84:85]
	v_add_f64 v[74:75], v[74:75], -v[78:79]
	v_add_f64 v[66:67], v[70:71], -v[66:67]
	v_fma_f64 v[70:71], v[170:171], s[14:15], v[84:85]
	v_add_f64 v[172:173], v[90:91], v[164:165]
	v_fma_f64 v[80:81], v[170:171], s[12:13], v[166:167]
	v_add_f64 v[78:79], v[158:159], v[90:91]
	;; [unrolled: 2-line block ×4, first 2 shown]
	v_fma_f64 v[176:177], v[176:177], s[6:7], v[70:71]
	v_fma_f64 v[166:167], v[172:173], -0.5, v[148:149]
	v_add_f64 v[172:173], v[88:89], -v[162:163]
	v_add_f64 v[180:181], v[168:169], -v[90:91]
	;; [unrolled: 1-line block ×4, first 2 shown]
	v_add_f64 v[186:187], v[78:79], v[164:165]
	v_fma_f64 v[148:149], v[170:171], -0.5, v[148:149]
	v_fma_f64 v[70:71], v[174:175], s[4:5], v[156:157]
	v_add_f64 v[156:157], v[86:87], v[82:83]
	v_fma_f64 v[78:79], v[184:185], s[4:5], v[176:177]
	v_add_f64 v[176:177], v[88:89], v[162:163]
	;; [unrolled: 2-line block ×4, first 2 shown]
	v_fma_f64 v[66:67], v[174:175], s[4:5], v[80:81]
	v_fma_f64 v[74:75], v[184:185], s[4:5], v[178:179]
	v_add_f64 v[80:81], v[186:187], v[160:161]
	v_fma_f64 v[170:171], v[158:159], s[14:15], v[148:149]
	v_add_f64 v[174:175], v[90:91], -v[168:169]
	v_add_f64 v[178:179], v[164:165], -v[160:161]
	v_fma_f64 v[156:157], v[156:157], -0.5, v[150:151]
	v_add_f64 v[160:161], v[168:169], -v[160:161]
	v_add_f64 v[90:91], v[90:91], -v[164:165]
	v_fma_f64 v[150:151], v[176:177], -0.5, v[150:151]
	v_fma_f64 v[84:85], v[158:159], s[6:7], v[84:85]
	v_fma_f64 v[166:167], v[158:159], s[12:13], v[166:167]
	;; [unrolled: 1-line block ×3, first 2 shown]
	v_add_f64 v[158:159], v[182:183], v[86:87]
	v_fma_f64 v[168:169], v[172:173], s[6:7], v[170:171]
	v_add_f64 v[164:165], v[174:175], v[178:179]
	v_fma_f64 v[170:171], v[160:161], s[14:15], v[156:157]
	v_add_f64 v[174:175], v[88:89], -v[86:87]
	v_add_f64 v[176:177], v[162:163], -v[82:83]
	v_fma_f64 v[178:179], v[90:91], s[0:1], v[150:151]
	v_add_f64 v[86:87], v[86:87], -v[88:89]
	v_add_f64 v[88:89], v[82:83], -v[162:163]
	v_fma_f64 v[156:157], v[160:161], s[0:1], v[156:157]
	v_fma_f64 v[150:151], v[90:91], s[14:15], v[150:151]
	v_add_f64 v[82:83], v[158:159], v[82:83]
	v_fma_f64 v[158:159], v[90:91], s[12:13], v[170:171]
	v_add_f64 v[170:171], v[174:175], v[176:177]
	v_fma_f64 v[174:175], v[160:161], s[12:13], v[178:179]
	v_fma_f64 v[172:173], v[172:173], s[12:13], v[148:149]
	v_add_f64 v[176:177], v[86:87], v[88:89]
	v_fma_f64 v[90:91], v[90:91], s[6:7], v[156:157]
	;; [unrolled: 3-line block ×3, first 2 shown]
	v_fma_f64 v[86:87], v[170:171], s[4:5], v[158:159]
	v_fma_f64 v[148:149], v[164:165], s[4:5], v[168:169]
	;; [unrolled: 1-line block ×7, first 2 shown]
	s_waitcnt lgkmcnt(0)
	; wave barrier
	ds_write_b128 v219, v[60:63]
	ds_write_b128 v219, v[64:67] offset:176
	ds_write_b128 v219, v[72:75] offset:352
	;; [unrolled: 1-line block ×4, first 2 shown]
	ds_write_b128 v220, v[80:83]
	ds_write_b128 v220, v[84:87] offset:176
	ds_write_b128 v220, v[148:151] offset:352
	ds_write_b128 v220, v[156:159] offset:528
	ds_write_b128 v220, v[88:91] offset:704
	s_and_saveexec_b64 s[16:17], vcc
	s_cbranch_execz .LBB0_9
; %bb.8:
	v_mul_f64 v[62:63], v[46:47], v[112:113]
	v_mul_f64 v[64:65], v[50:51], v[128:129]
	;; [unrolled: 1-line block ×8, first 2 shown]
	v_fma_f64 v[62:63], v[44:45], v[114:115], -v[62:63]
	v_fma_f64 v[64:65], v[48:49], v[130:131], -v[64:65]
	;; [unrolled: 1-line block ×4, first 2 shown]
	v_fma_f64 v[56:57], v[56:57], v[120:121], v[58:59]
	v_fma_f64 v[52:53], v[52:53], v[124:125], v[54:55]
	;; [unrolled: 1-line block ×4, first 2 shown]
	v_add_f64 v[76:77], v[154:155], v[62:63]
	v_add_f64 v[46:47], v[62:63], v[64:65]
	v_add_f64 v[50:51], v[60:61], -v[62:63]
	v_add_f64 v[70:71], v[60:61], v[66:67]
	v_add_f64 v[54:55], v[66:67], -v[64:65]
	v_add_f64 v[58:59], v[56:57], -v[52:53]
	v_add_f64 v[88:89], v[56:57], v[52:53]
	v_add_f64 v[68:69], v[44:45], -v[48:49]
	v_add_f64 v[72:73], v[62:63], -v[60:61]
	v_fma_f64 v[46:47], v[46:47], -0.5, v[154:155]
	v_add_f64 v[74:75], v[64:65], -v[66:67]
	v_fma_f64 v[70:71], v[70:71], -0.5, v[154:155]
	v_add_f64 v[82:83], v[44:45], v[48:49]
	v_add_f64 v[90:91], v[152:153], v[44:45]
	;; [unrolled: 1-line block ×3, first 2 shown]
	v_add_f64 v[62:63], v[62:63], -v[64:65]
	v_add_f64 v[86:87], v[60:61], -v[66:67]
	v_fma_f64 v[84:85], v[58:59], s[14:15], v[46:47]
	v_fma_f64 v[46:47], v[58:59], s[0:1], v[46:47]
	;; [unrolled: 1-line block ×4, first 2 shown]
	v_add_f64 v[60:61], v[76:77], v[60:61]
	v_fma_f64 v[76:77], v[88:89], -0.5, v[152:153]
	v_add_f64 v[72:73], v[72:73], v[74:75]
	v_fma_f64 v[74:75], v[82:83], -0.5, v[152:153]
	v_fma_f64 v[84:85], v[68:69], s[6:7], v[84:85]
	v_fma_f64 v[68:69], v[68:69], s[12:13], v[46:47]
	v_add_f64 v[78:79], v[56:57], -v[44:45]
	v_add_f64 v[44:45], v[44:45], -v[56:57]
	v_add_f64 v[56:57], v[90:91], v[56:57]
	v_fma_f64 v[54:55], v[58:59], s[6:7], v[54:55]
	v_fma_f64 v[58:59], v[58:59], s[12:13], v[70:71]
	;; [unrolled: 1-line block ×5, first 2 shown]
	v_add_f64 v[68:69], v[48:49], -v[52:53]
	v_add_f64 v[80:81], v[52:53], -v[48:49]
	v_fma_f64 v[82:83], v[86:87], s[14:15], v[74:75]
	v_fma_f64 v[74:75], v[86:87], s[0:1], v[74:75]
	;; [unrolled: 1-line block ×3, first 2 shown]
	v_add_f64 v[60:61], v[60:61], v[66:67]
	v_fma_f64 v[58:59], v[72:73], s[4:5], v[58:59]
	v_fma_f64 v[54:55], v[72:73], s[4:5], v[54:55]
	v_add_f64 v[68:69], v[44:45], v[68:69]
	v_add_f64 v[44:45], v[56:57], v[52:53]
	v_fma_f64 v[52:53], v[86:87], s[6:7], v[70:71]
	v_add_f64 v[66:67], v[78:79], v[80:81]
	v_fma_f64 v[70:71], v[62:63], s[6:7], v[82:83]
	v_fma_f64 v[74:75], v[62:63], s[12:13], v[74:75]
	;; [unrolled: 1-line block ×3, first 2 shown]
	v_add_f64 v[62:63], v[60:61], v[64:65]
	v_mov_b32_e32 v64, 4
	v_add_f64 v[60:61], v[44:45], v[48:49]
	v_fma_f64 v[56:57], v[68:69], s[4:5], v[52:53]
	v_lshlrev_b32_sdwa v64, v64, v217 dst_sel:DWORD dst_unused:UNUSED_PAD src0_sel:DWORD src1_sel:BYTE_0
	v_fma_f64 v[48:49], v[66:67], s[4:5], v[70:71]
	v_fma_f64 v[44:45], v[66:67], s[4:5], v[74:75]
	;; [unrolled: 1-line block ×3, first 2 shown]
	ds_write_b128 v64, v[60:63] offset:8800
	ds_write_b128 v64, v[56:59] offset:8976
	;; [unrolled: 1-line block ×5, first 2 shown]
.LBB0_9:
	s_or_b64 exec, exec, s[16:17]
	s_waitcnt lgkmcnt(0)
	; wave barrier
	s_waitcnt lgkmcnt(0)
	ds_read_b128 v[44:47], v215 offset:880
	ds_read_b128 v[48:51], v215 offset:1760
	ds_read_b128 v[52:55], v215
	ds_read_b128 v[56:59], v215 offset:2640
	s_mov_b32 s12, 0xf8bb580b
	s_mov_b32 s6, 0x8764f0ba
	s_waitcnt lgkmcnt(2)
	v_mul_f64 v[66:67], v[118:119], v[48:49]
	v_mul_f64 v[62:63], v[134:135], v[44:45]
	v_mul_f64 v[60:61], v[134:135], v[46:47]
	v_mul_f64 v[64:65], v[118:119], v[50:51]
	s_waitcnt lgkmcnt(0)
	v_mul_f64 v[68:69], v[106:107], v[58:59]
	v_mul_f64 v[70:71], v[106:107], v[56:57]
	s_mov_b32 s0, 0x8eee2c13
	s_mov_b32 s4, 0xd9c712b6
	v_fma_f64 v[82:83], v[116:117], v[50:51], -v[66:67]
	v_fma_f64 v[78:79], v[132:133], v[46:47], -v[62:63]
	v_fma_f64 v[76:77], v[132:133], v[44:45], v[60:61]
	ds_read_b128 v[44:47], v215 offset:3520
	ds_read_b128 v[60:63], v215 offset:4400
	v_fma_f64 v[80:81], v[116:117], v[48:49], v[64:65]
	v_fma_f64 v[88:89], v[104:105], v[56:57], v[68:69]
	v_fma_f64 v[90:91], v[104:105], v[58:59], -v[70:71]
	s_waitcnt lgkmcnt(1)
	v_mul_f64 v[86:87], v[98:99], v[44:45]
	v_mul_f64 v[84:85], v[98:99], v[46:47]
	v_add_f64 v[74:75], v[54:55], v[78:79]
	v_add_f64 v[72:73], v[52:53], v[76:77]
	s_waitcnt lgkmcnt(0)
	v_mul_f64 v[112:113], v[142:143], v[60:61]
	ds_read_b128 v[48:51], v215 offset:5280
	ds_read_b128 v[64:67], v215 offset:6160
	v_mul_f64 v[106:107], v[142:143], v[62:63]
	s_mov_b32 s16, 0x43842ef
	v_fma_f64 v[86:87], v[96:97], v[46:47], -v[86:87]
	v_fma_f64 v[84:85], v[96:97], v[44:45], v[84:85]
	v_add_f64 v[104:105], v[74:75], v[82:83]
	v_add_f64 v[98:99], v[72:73], v[80:81]
	v_fma_f64 v[62:63], v[140:141], v[62:63], -v[112:113]
	s_waitcnt lgkmcnt(1)
	v_mul_f64 v[96:97], v[110:111], v[50:51]
	v_fma_f64 v[60:61], v[140:141], v[60:61], v[106:107]
	ds_read_b128 v[56:59], v215 offset:7040
	ds_read_b128 v[68:71], v215 offset:7920
	ds_read_b128 v[72:75], v215 offset:8800
	s_mov_b32 s20, 0x640f44db
	s_mov_b32 s24, 0xbb3a28a1
	v_add_f64 v[46:47], v[104:105], v[90:91]
	v_add_f64 v[44:45], v[98:99], v[88:89]
	v_mul_f64 v[98:99], v[110:111], v[48:49]
	s_waitcnt lgkmcnt(3)
	v_mul_f64 v[104:105], v[102:103], v[66:67]
	v_mul_f64 v[102:103], v[102:103], v[64:65]
	s_waitcnt lgkmcnt(0)
	v_mul_f64 v[106:107], v[138:139], v[72:73]
	v_fma_f64 v[48:49], v[108:109], v[48:49], v[96:97]
	v_mul_f64 v[96:97], v[94:95], v[58:59]
	v_add_f64 v[46:47], v[46:47], v[86:87]
	v_add_f64 v[44:45], v[44:45], v[84:85]
	v_fma_f64 v[50:51], v[108:109], v[50:51], -v[98:99]
	v_mul_f64 v[94:95], v[94:95], v[56:57]
	v_fma_f64 v[66:67], v[100:101], v[66:67], -v[102:103]
	v_mul_f64 v[98:99], v[138:139], v[74:75]
	v_fma_f64 v[64:65], v[100:101], v[64:65], v[104:105]
	v_fma_f64 v[74:75], v[136:137], v[74:75], -v[106:107]
	v_add_f64 v[46:47], v[46:47], v[62:63]
	v_add_f64 v[44:45], v[44:45], v[60:61]
	v_mul_f64 v[102:103], v[146:147], v[68:69]
	v_fma_f64 v[58:59], v[92:93], v[58:59], -v[94:95]
	v_mul_f64 v[100:101], v[146:147], v[70:71]
	v_fma_f64 v[56:57], v[92:93], v[56:57], v[96:97]
	v_fma_f64 v[72:73], v[136:137], v[72:73], v[98:99]
	v_add_f64 v[92:93], v[78:79], -v[74:75]
	v_add_f64 v[46:47], v[46:47], v[50:51]
	v_add_f64 v[44:45], v[44:45], v[48:49]
	v_fma_f64 v[70:71], v[144:145], v[70:71], -v[102:103]
	v_add_f64 v[78:79], v[78:79], v[74:75]
	s_mov_b32 s26, 0x7f775887
	s_mov_b32 s30, 0xfd768dbf
	;; [unrolled: 1-line block ×4, first 2 shown]
	v_add_f64 v[46:47], v[46:47], v[66:67]
	v_add_f64 v[44:45], v[44:45], v[64:65]
	s_mov_b32 s7, 0x3feaeb8c
	s_mov_b32 s1, 0xbfed1bb4
	;; [unrolled: 1-line block ×6, first 2 shown]
	v_add_f64 v[46:47], v[46:47], v[58:59]
	s_mov_b32 s27, 0xbfe4f49e
	s_mov_b32 s31, 0xbfd207e7
	;; [unrolled: 1-line block ×3, first 2 shown]
	v_fma_f64 v[68:69], v[144:145], v[68:69], v[100:101]
	v_add_f64 v[94:95], v[76:77], v[72:73]
	v_mul_f64 v[96:97], v[92:93], s[12:13]
	v_add_f64 v[44:45], v[44:45], v[56:57]
	v_add_f64 v[76:77], v[76:77], -v[72:73]
	v_mul_f64 v[98:99], v[78:79], s[6:7]
	v_add_f64 v[46:47], v[46:47], v[70:71]
	v_mul_f64 v[102:103], v[92:93], s[0:1]
	v_mul_f64 v[104:105], v[78:79], s[4:5]
	;; [unrolled: 1-line block ×8, first 2 shown]
	v_add_f64 v[124:125], v[82:83], -v[70:71]
	v_add_f64 v[70:71], v[82:83], v[70:71]
	s_mov_b32 s19, 0x3fe14ced
	s_mov_b32 s18, s12
	;; [unrolled: 1-line block ×4, first 2 shown]
	v_add_f64 v[44:45], v[44:45], v[68:69]
	v_fma_f64 v[100:101], v[94:95], s[6:7], v[96:97]
	v_fma_f64 v[106:107], v[76:77], s[18:19], v[98:99]
	v_fma_f64 v[82:83], v[94:95], s[34:35], v[92:93]
	v_fma_f64 v[126:127], v[76:77], s[36:37], v[78:79]
	v_add_f64 v[128:129], v[80:81], v[68:69]
	v_add_f64 v[68:69], v[80:81], -v[68:69]
	v_mul_f64 v[80:81], v[124:125], s[0:1]
	v_mul_f64 v[130:131], v[70:71], s[4:5]
	s_mov_b32 s15, 0x3fed1bb4
	s_mov_b32 s14, s0
	;; [unrolled: 1-line block ×6, first 2 shown]
	v_fma_f64 v[96:97], v[94:95], s[6:7], -v[96:97]
	v_add_f64 v[44:45], v[44:45], v[72:73]
	v_add_f64 v[46:47], v[46:47], v[74:75]
	;; [unrolled: 1-line block ×3, first 2 shown]
	v_fma_f64 v[74:75], v[76:77], s[12:13], v[98:99]
	v_fma_f64 v[98:99], v[94:95], s[4:5], v[102:103]
	;; [unrolled: 1-line block ×3, first 2 shown]
	v_add_f64 v[106:107], v[54:55], v[106:107]
	v_fma_f64 v[102:103], v[94:95], s[4:5], -v[102:103]
	v_fma_f64 v[104:105], v[76:77], s[0:1], v[104:105]
	v_fma_f64 v[110:111], v[94:95], s[20:21], v[108:109]
	;; [unrolled: 1-line block ×3, first 2 shown]
	v_fma_f64 v[108:109], v[94:95], s[20:21], -v[108:109]
	v_fma_f64 v[112:113], v[76:77], s[16:17], v[112:113]
	v_fma_f64 v[120:121], v[94:95], s[26:27], v[114:115]
	;; [unrolled: 1-line block ×3, first 2 shown]
	v_fma_f64 v[114:115], v[94:95], s[26:27], -v[114:115]
	v_fma_f64 v[116:117], v[76:77], s[24:25], v[116:117]
	v_fma_f64 v[92:93], v[94:95], s[34:35], -v[92:93]
	v_fma_f64 v[76:77], v[76:77], s[30:31], v[78:79]
	v_add_f64 v[78:79], v[52:53], v[82:83]
	v_add_f64 v[82:83], v[54:55], v[126:127]
	v_mul_f64 v[94:95], v[124:125], s[24:25]
	v_mul_f64 v[126:127], v[70:71], s[26:27]
	v_fma_f64 v[132:133], v[128:129], s[4:5], v[80:81]
	v_fma_f64 v[134:135], v[68:69], s[14:15], v[130:131]
	v_add_f64 v[96:97], v[52:53], v[96:97]
	v_add_f64 v[74:75], v[54:55], v[74:75]
	;; [unrolled: 1-line block ×16, first 2 shown]
	v_fma_f64 v[76:77], v[128:129], s[4:5], -v[80:81]
	v_fma_f64 v[80:81], v[68:69], s[0:1], v[130:131]
	v_fma_f64 v[92:93], v[128:129], s[26:27], v[94:95]
	;; [unrolled: 1-line block ×3, first 2 shown]
	v_add_f64 v[72:73], v[132:133], v[72:73]
	v_add_f64 v[106:107], v[134:135], v[106:107]
	v_mul_f64 v[132:133], v[124:125], s[36:37]
	v_mul_f64 v[134:135], v[70:71], s[34:35]
	v_add_f64 v[76:77], v[76:77], v[96:97]
	v_add_f64 v[74:75], v[80:81], v[74:75]
	;; [unrolled: 1-line block ×4, first 2 shown]
	v_fma_f64 v[94:95], v[128:129], s[26:27], -v[94:95]
	v_fma_f64 v[96:97], v[68:69], s[24:25], v[126:127]
	v_fma_f64 v[98:99], v[128:129], s[34:35], v[132:133]
	;; [unrolled: 1-line block ×3, first 2 shown]
	v_mul_f64 v[126:127], v[124:125], s[22:23]
	v_mul_f64 v[130:131], v[70:71], s[20:21]
	v_fma_f64 v[134:135], v[68:69], s[36:37], v[134:135]
	v_mul_f64 v[124:125], v[124:125], s[18:19]
	v_add_f64 v[94:95], v[94:95], v[102:103]
	v_mul_f64 v[70:71], v[70:71], s[6:7]
	v_add_f64 v[98:99], v[98:99], v[110:111]
	v_add_f64 v[100:101], v[100:101], v[118:119]
	v_fma_f64 v[102:103], v[128:129], s[20:21], v[126:127]
	v_fma_f64 v[118:119], v[68:69], s[22:23], v[130:131]
	v_add_f64 v[110:111], v[134:135], v[112:113]
	v_fma_f64 v[112:113], v[128:129], s[20:21], -v[126:127]
	v_add_f64 v[96:97], v[96:97], v[104:105]
	v_fma_f64 v[104:105], v[68:69], s[16:17], v[130:131]
	v_fma_f64 v[132:133], v[128:129], s[34:35], -v[132:133]
	v_add_f64 v[102:103], v[102:103], v[120:121]
	v_add_f64 v[120:121], v[90:91], -v[58:59]
	v_add_f64 v[58:59], v[90:91], v[58:59]
	v_add_f64 v[90:91], v[112:113], v[114:115]
	;; [unrolled: 1-line block ×3, first 2 shown]
	v_fma_f64 v[114:115], v[128:129], s[6:7], v[124:125]
	v_fma_f64 v[116:117], v[68:69], s[12:13], v[70:71]
	v_add_f64 v[104:105], v[104:105], v[122:123]
	v_add_f64 v[118:119], v[88:89], v[56:57]
	v_add_f64 v[56:57], v[88:89], -v[56:57]
	v_mul_f64 v[88:89], v[120:121], s[16:17]
	v_mul_f64 v[122:123], v[58:59], s[20:21]
	v_fma_f64 v[68:69], v[68:69], s[18:19], v[70:71]
	v_add_f64 v[70:71], v[114:115], v[78:79]
	v_add_f64 v[78:79], v[116:117], v[82:83]
	v_mul_f64 v[82:83], v[120:121], s[36:37]
	v_fma_f64 v[124:125], v[128:129], s[6:7], -v[124:125]
	v_mul_f64 v[114:115], v[58:59], s[34:35]
	v_fma_f64 v[116:117], v[118:119], s[20:21], v[88:89]
	v_fma_f64 v[126:127], v[56:57], s[22:23], v[122:123]
	v_add_f64 v[54:55], v[68:69], v[54:55]
	v_fma_f64 v[68:69], v[118:119], s[20:21], -v[88:89]
	v_fma_f64 v[88:89], v[56:57], s[16:17], v[122:123]
	v_fma_f64 v[122:123], v[118:119], s[34:35], v[82:83]
	v_add_f64 v[52:53], v[124:125], v[52:53]
	v_fma_f64 v[124:125], v[56:57], s[30:31], v[114:115]
	v_add_f64 v[72:73], v[116:117], v[72:73]
	v_add_f64 v[106:107], v[126:127], v[106:107]
	v_mul_f64 v[116:117], v[120:121], s[14:15]
	v_mul_f64 v[126:127], v[58:59], s[4:5]
	v_add_f64 v[68:69], v[68:69], v[76:77]
	v_add_f64 v[74:75], v[88:89], v[74:75]
	;; [unrolled: 1-line block ×3, first 2 shown]
	v_fma_f64 v[88:89], v[56:57], s[36:37], v[114:115]
	v_mul_f64 v[122:123], v[120:121], s[12:13]
	v_add_f64 v[108:109], v[132:133], v[108:109]
	v_add_f64 v[80:81], v[124:125], v[92:93]
	v_fma_f64 v[82:83], v[118:119], s[34:35], -v[82:83]
	v_fma_f64 v[92:93], v[118:119], s[4:5], v[116:117]
	v_fma_f64 v[114:115], v[56:57], s[0:1], v[126:127]
	v_fma_f64 v[116:117], v[118:119], s[4:5], -v[116:117]
	v_fma_f64 v[126:127], v[56:57], s[14:15], v[126:127]
	v_add_f64 v[88:89], v[88:89], v[96:97]
	v_fma_f64 v[96:97], v[118:119], s[6:7], v[122:123]
	v_mul_f64 v[124:125], v[58:59], s[6:7]
	v_add_f64 v[82:83], v[82:83], v[94:95]
	v_add_f64 v[92:93], v[92:93], v[98:99]
	;; [unrolled: 1-line block ×5, first 2 shown]
	v_mul_f64 v[110:111], v[120:121], s[24:25]
	v_fma_f64 v[114:115], v[118:119], s[6:7], -v[122:123]
	v_add_f64 v[96:97], v[96:97], v[102:103]
	v_add_f64 v[102:103], v[86:87], -v[66:67]
	v_fma_f64 v[98:99], v[56:57], s[18:19], v[124:125]
	v_mul_f64 v[58:59], v[58:59], s[26:27]
	v_fma_f64 v[116:117], v[56:57], s[12:13], v[124:125]
	v_add_f64 v[66:67], v[86:87], v[66:67]
	v_fma_f64 v[86:87], v[118:119], s[26:27], v[110:111]
	v_add_f64 v[90:91], v[114:115], v[90:91]
	v_add_f64 v[114:115], v[84:85], v[64:65]
	v_add_f64 v[64:65], v[84:85], -v[64:65]
	v_mul_f64 v[84:85], v[102:103], s[24:25]
	v_add_f64 v[98:99], v[98:99], v[104:105]
	v_fma_f64 v[104:105], v[56:57], s[28:29], v[58:59]
	v_add_f64 v[112:113], v[116:117], v[112:113]
	v_mul_f64 v[116:117], v[66:67], s[26:27]
	v_add_f64 v[70:71], v[86:87], v[70:71]
	v_fma_f64 v[86:87], v[118:119], s[26:27], -v[110:111]
	v_fma_f64 v[56:57], v[56:57], s[24:25], v[58:59]
	v_fma_f64 v[110:111], v[114:115], s[26:27], v[84:85]
	v_fma_f64 v[84:85], v[114:115], s[26:27], -v[84:85]
	v_add_f64 v[78:79], v[104:105], v[78:79]
	v_mul_f64 v[58:59], v[102:103], s[22:23]
	v_mul_f64 v[104:105], v[66:67], s[20:21]
	v_fma_f64 v[118:119], v[64:65], s[28:29], v[116:117]
	v_fma_f64 v[116:117], v[64:65], s[24:25], v[116:117]
	v_add_f64 v[52:53], v[86:87], v[52:53]
	v_add_f64 v[72:73], v[110:111], v[72:73]
	;; [unrolled: 1-line block ×3, first 2 shown]
	v_mul_f64 v[84:85], v[102:103], s[12:13]
	v_mul_f64 v[110:111], v[66:67], s[6:7]
	v_add_f64 v[54:55], v[56:57], v[54:55]
	v_fma_f64 v[56:57], v[114:115], s[20:21], v[58:59]
	v_fma_f64 v[86:87], v[64:65], s[16:17], v[104:105]
	v_add_f64 v[106:107], v[118:119], v[106:107]
	v_add_f64 v[74:75], v[116:117], v[74:75]
	v_fma_f64 v[104:105], v[64:65], s[22:23], v[104:105]
	v_fma_f64 v[116:117], v[114:115], s[6:7], v[84:85]
	;; [unrolled: 1-line block ×3, first 2 shown]
	v_fma_f64 v[84:85], v[114:115], s[6:7], -v[84:85]
	v_fma_f64 v[110:111], v[64:65], s[12:13], v[110:111]
	v_add_f64 v[56:57], v[56:57], v[76:77]
	v_add_f64 v[76:77], v[86:87], v[80:81]
	v_mul_f64 v[80:81], v[102:103], s[30:31]
	v_mul_f64 v[86:87], v[66:67], s[34:35]
	v_fma_f64 v[58:59], v[114:115], s[20:21], -v[58:59]
	v_add_f64 v[88:89], v[104:105], v[88:89]
	v_add_f64 v[84:85], v[84:85], v[100:101]
	;; [unrolled: 1-line block ×3, first 2 shown]
	v_add_f64 v[104:105], v[62:63], -v[50:51]
	v_add_f64 v[108:109], v[62:63], v[50:51]
	v_mul_f64 v[50:51], v[102:103], s[14:15]
	v_fma_f64 v[120:121], v[114:115], s[34:35], v[80:81]
	v_fma_f64 v[122:123], v[64:65], s[36:37], v[86:87]
	v_add_f64 v[82:83], v[58:59], v[82:83]
	v_mul_f64 v[58:59], v[66:67], s[4:5]
	v_fma_f64 v[62:63], v[114:115], s[34:35], -v[80:81]
	v_fma_f64 v[66:67], v[64:65], s[30:31], v[86:87]
	v_add_f64 v[80:81], v[60:61], v[48:49]
	v_add_f64 v[86:87], v[60:61], -v[48:49]
	v_mul_f64 v[102:103], v[108:109], s[34:35]
	v_fma_f64 v[48:49], v[114:115], s[4:5], v[50:51]
	v_mul_f64 v[60:61], v[104:105], s[30:31]
	v_fma_f64 v[110:111], v[64:65], s[0:1], v[58:59]
	v_fma_f64 v[50:51], v[114:115], s[4:5], -v[50:51]
	v_add_f64 v[112:113], v[66:67], v[112:113]
	v_fma_f64 v[58:59], v[64:65], s[14:15], v[58:59]
	v_mul_f64 v[66:67], v[104:105], s[18:19]
	v_fma_f64 v[64:65], v[86:87], s[36:37], v[102:103]
	v_add_f64 v[114:115], v[48:49], v[70:71]
	v_mul_f64 v[70:71], v[108:109], s[6:7]
	v_add_f64 v[90:91], v[62:63], v[90:91]
	v_fma_f64 v[62:63], v[80:81], s[34:35], v[60:61]
	v_add_f64 v[92:93], v[116:117], v[92:93]
	v_add_f64 v[78:79], v[110:111], v[78:79]
	v_add_f64 v[110:111], v[50:51], v[52:53]
	v_add_f64 v[116:117], v[58:59], v[54:55]
	v_add_f64 v[50:51], v[64:65], v[106:107]
	v_fma_f64 v[52:53], v[80:81], s[34:35], -v[60:61]
	v_fma_f64 v[54:55], v[86:87], s[30:31], v[102:103]
	v_fma_f64 v[58:59], v[80:81], s[6:7], v[66:67]
	;; [unrolled: 1-line block ×3, first 2 shown]
	v_mul_f64 v[64:65], v[104:105], s[24:25]
	v_add_f64 v[48:49], v[62:63], v[72:73]
	v_fma_f64 v[62:63], v[80:81], s[6:7], -v[66:67]
	v_fma_f64 v[66:67], v[86:87], s[18:19], v[70:71]
	v_mul_f64 v[70:71], v[108:109], s[26:27]
	v_add_f64 v[52:53], v[52:53], v[68:69]
	v_add_f64 v[54:55], v[54:55], v[74:75]
	;; [unrolled: 1-line block ×4, first 2 shown]
	v_fma_f64 v[68:69], v[80:81], s[26:27], v[64:65]
	v_fma_f64 v[72:73], v[80:81], s[26:27], -v[64:65]
	v_mul_f64 v[74:75], v[104:105], s[14:15]
	v_mul_f64 v[76:77], v[108:109], s[4:5]
	v_add_f64 v[94:95], v[118:119], v[94:95]
	v_add_f64 v[60:61], v[62:63], v[82:83]
	;; [unrolled: 1-line block ×3, first 2 shown]
	v_fma_f64 v[66:67], v[86:87], s[28:29], v[70:71]
	v_fma_f64 v[70:71], v[86:87], s[24:25], v[70:71]
	v_mul_f64 v[82:83], v[104:105], s[16:17]
	v_mul_f64 v[88:89], v[108:109], s[20:21]
	v_add_f64 v[96:97], v[120:121], v[96:97]
	v_add_f64 v[98:99], v[122:123], v[98:99]
	;; [unrolled: 1-line block ×4, first 2 shown]
	v_fma_f64 v[72:73], v[80:81], s[4:5], v[74:75]
	v_fma_f64 v[84:85], v[86:87], s[0:1], v[76:77]
	v_add_f64 v[66:67], v[66:67], v[94:95]
	v_add_f64 v[70:71], v[70:71], v[100:101]
	v_fma_f64 v[94:95], v[80:81], s[20:21], v[82:83]
	v_fma_f64 v[100:101], v[86:87], s[22:23], v[88:89]
	v_fma_f64 v[102:103], v[80:81], s[20:21], -v[82:83]
	v_fma_f64 v[88:89], v[86:87], s[16:17], v[88:89]
	v_fma_f64 v[92:93], v[80:81], s[4:5], -v[74:75]
	v_fma_f64 v[104:105], v[86:87], s[14:15], v[76:77]
	v_add_f64 v[72:73], v[72:73], v[96:97]
	v_add_f64 v[74:75], v[84:85], v[98:99]
	;; [unrolled: 1-line block ×8, first 2 shown]
	ds_write_b128 v215, v[44:47]
	ds_write_b128 v215, v[48:51] offset:880
	ds_write_b128 v215, v[56:59] offset:1760
	;; [unrolled: 1-line block ×10, first 2 shown]
	s_waitcnt lgkmcnt(0)
	; wave barrier
	s_waitcnt lgkmcnt(0)
	ds_read_b128 v[44:47], v215
	ds_read_b128 v[48:51], v215 offset:880
	v_mad_u64_u32 v[52:53], s[0:1], s10, v192, 0
	s_waitcnt lgkmcnt(1)
	v_mul_f64 v[54:55], v[42:43], v[46:47]
	v_mul_f64 v[42:43], v[42:43], v[44:45]
	v_mad_u64_u32 v[56:57], s[0:1], s11, v192, v[53:54]
	v_mad_u64_u32 v[57:58], s[0:1], s8, v216, 0
	v_fma_f64 v[44:45], v[40:41], v[44:45], v[54:55]
	v_fma_f64 v[42:43], v[40:41], v[46:47], -v[42:43]
	v_mov_b32_e32 v40, v58
	v_mad_u64_u32 v[46:47], s[0:1], s9, v216, v[40:41]
	s_mov_b32 s0, 0xdfd760e6
	s_mov_b32 s1, 0x3f5b14bb
	v_mov_b32_e32 v58, v46
	s_waitcnt lgkmcnt(0)
	v_mul_f64 v[46:47], v[26:27], v[50:51]
	v_mul_f64 v[26:27], v[26:27], v[48:49]
	v_mov_b32_e32 v53, v56
	v_mul_f64 v[40:41], v[44:45], s[0:1]
	v_mul_f64 v[42:43], v[42:43], s[0:1]
	v_lshlrev_b64 v[44:45], 4, v[52:53]
	v_mov_b32_e32 v52, s3
	v_add_co_u32_e32 v53, vcc, s2, v44
	v_fma_f64 v[46:47], v[24:25], v[48:49], v[46:47]
	v_fma_f64 v[48:49], v[24:25], v[50:51], -v[26:27]
	ds_read_b128 v[24:27], v215 offset:1760
	v_addc_co_u32_e32 v52, vcc, v52, v45, vcc
	v_lshlrev_b64 v[44:45], 4, v[57:58]
	s_mul_i32 s2, s9, 0x370
	v_add_co_u32_e32 v50, vcc, v53, v44
	v_addc_co_u32_e32 v51, vcc, v52, v45, vcc
	global_store_dwordx4 v[50:51], v[40:43], off
	s_mul_hi_u32 s3, s8, 0x370
	v_mul_f64 v[40:41], v[46:47], s[0:1]
	ds_read_b128 v[44:47], v215 offset:2640
	s_waitcnt lgkmcnt(1)
	v_mul_f64 v[52:53], v[34:35], v[26:27]
	v_mul_f64 v[34:35], v[34:35], v[24:25]
	;; [unrolled: 1-line block ×3, first 2 shown]
	s_add_i32 s2, s3, s2
	s_waitcnt lgkmcnt(0)
	v_mul_f64 v[48:49], v[18:19], v[46:47]
	v_mul_f64 v[18:19], v[18:19], v[44:45]
	s_mul_i32 s3, s8, 0x370
	v_mov_b32_e32 v54, s2
	v_fma_f64 v[24:25], v[32:33], v[24:25], v[52:53]
	v_fma_f64 v[26:27], v[32:33], v[26:27], -v[34:35]
	v_add_co_u32_e32 v50, vcc, s3, v50
	v_addc_co_u32_e32 v51, vcc, v51, v54, vcc
	global_store_dwordx4 v[50:51], v[40:43], off
	ds_read_b128 v[32:35], v215 offset:3520
	v_mul_f64 v[24:25], v[24:25], s[0:1]
	v_mul_f64 v[26:27], v[26:27], s[0:1]
	v_fma_f64 v[40:41], v[16:17], v[44:45], v[48:49]
	v_fma_f64 v[42:43], v[16:17], v[46:47], -v[18:19]
	ds_read_b128 v[16:19], v215 offset:4400
	s_waitcnt lgkmcnt(1)
	v_mul_f64 v[44:45], v[10:11], v[34:35]
	v_mul_f64 v[10:11], v[10:11], v[32:33]
	v_mov_b32_e32 v52, s2
	v_add_co_u32_e32 v46, vcc, s3, v50
	v_addc_co_u32_e32 v47, vcc, v51, v52, vcc
	global_store_dwordx4 v[46:47], v[24:27], off
	v_fma_f64 v[32:33], v[8:9], v[32:33], v[44:45]
	v_mul_f64 v[24:25], v[40:41], s[0:1]
	v_mul_f64 v[26:27], v[42:43], s[0:1]
	v_fma_f64 v[10:11], v[8:9], v[34:35], -v[10:11]
	s_waitcnt lgkmcnt(0)
	v_mul_f64 v[34:35], v[38:39], v[18:19]
	v_mul_f64 v[38:39], v[38:39], v[16:17]
	v_mov_b32_e32 v41, s2
	v_add_co_u32_e32 v40, vcc, s3, v46
	v_addc_co_u32_e32 v41, vcc, v47, v41, vcc
	global_store_dwordx4 v[40:41], v[24:27], off
	ds_read_b128 v[24:27], v215 offset:5280
	v_mul_f64 v[8:9], v[32:33], s[0:1]
	v_mul_f64 v[10:11], v[10:11], s[0:1]
	v_fma_f64 v[32:33], v[36:37], v[16:17], v[34:35]
	v_fma_f64 v[34:35], v[36:37], v[18:19], -v[38:39]
	ds_read_b128 v[16:19], v215 offset:6160
	s_waitcnt lgkmcnt(1)
	v_mul_f64 v[36:37], v[14:15], v[26:27]
	v_mul_f64 v[14:15], v[14:15], v[24:25]
	v_mov_b32_e32 v42, s2
	v_add_co_u32_e32 v38, vcc, s3, v40
	v_addc_co_u32_e32 v39, vcc, v41, v42, vcc
	global_store_dwordx4 v[38:39], v[8:11], off
	v_fma_f64 v[24:25], v[12:13], v[24:25], v[36:37]
	v_mul_f64 v[8:9], v[32:33], s[0:1]
	v_mul_f64 v[10:11], v[34:35], s[0:1]
	v_fma_f64 v[12:13], v[12:13], v[26:27], -v[14:15]
	s_waitcnt lgkmcnt(0)
	v_mul_f64 v[26:27], v[30:31], v[18:19]
	v_mul_f64 v[30:31], v[30:31], v[16:17]
	v_mov_b32_e32 v33, s2
	v_add_co_u32_e32 v32, vcc, s3, v38
	v_addc_co_u32_e32 v33, vcc, v39, v33, vcc
	global_store_dwordx4 v[32:33], v[8:11], off
	v_mov_b32_e32 v34, s2
	v_mul_f64 v[10:11], v[12:13], s[0:1]
	ds_read_b128 v[12:15], v215 offset:7040
	v_mul_f64 v[8:9], v[24:25], s[0:1]
	v_fma_f64 v[24:25], v[28:29], v[16:17], v[26:27]
	v_fma_f64 v[26:27], v[28:29], v[18:19], -v[30:31]
	ds_read_b128 v[16:19], v215 offset:7920
	s_waitcnt lgkmcnt(1)
	v_mul_f64 v[28:29], v[6:7], v[14:15]
	v_mul_f64 v[30:31], v[6:7], v[12:13]
	v_add_co_u32_e32 v32, vcc, s3, v32
	v_addc_co_u32_e32 v33, vcc, v33, v34, vcc
	global_store_dwordx4 v[32:33], v[8:11], off
	v_mul_f64 v[6:7], v[24:25], s[0:1]
	v_fma_f64 v[24:25], v[4:5], v[12:13], v[28:29]
	ds_read_b128 v[10:13], v215 offset:8800
	v_mul_f64 v[8:9], v[26:27], s[0:1]
	v_mov_b32_e32 v26, s2
	v_fma_f64 v[4:5], v[4:5], v[14:15], -v[30:31]
	v_add_co_u32_e32 v14, vcc, s3, v32
	v_addc_co_u32_e32 v15, vcc, v33, v26, vcc
	s_waitcnt lgkmcnt(1)
	v_mul_f64 v[26:27], v[2:3], v[18:19]
	v_mul_f64 v[28:29], v[2:3], v[16:17]
	s_waitcnt lgkmcnt(0)
	v_mul_f64 v[30:31], v[22:23], v[12:13]
	v_mul_f64 v[22:23], v[22:23], v[10:11]
	global_store_dwordx4 v[14:15], v[6:9], off
	v_mul_f64 v[2:3], v[24:25], s[0:1]
	v_mul_f64 v[4:5], v[4:5], s[0:1]
	v_mov_b32_e32 v24, s2
	v_fma_f64 v[6:7], v[0:1], v[16:17], v[26:27]
	v_fma_f64 v[8:9], v[0:1], v[18:19], -v[28:29]
	v_fma_f64 v[10:11], v[20:21], v[10:11], v[30:31]
	v_fma_f64 v[12:13], v[20:21], v[12:13], -v[22:23]
	v_add_co_u32_e32 v14, vcc, s3, v14
	v_addc_co_u32_e32 v15, vcc, v15, v24, vcc
	global_store_dwordx4 v[14:15], v[2:5], off
	v_mul_f64 v[0:1], v[6:7], s[0:1]
	v_mul_f64 v[2:3], v[8:9], s[0:1]
	;; [unrolled: 1-line block ×4, first 2 shown]
	v_mov_b32_e32 v9, s2
	v_add_co_u32_e32 v8, vcc, s3, v14
	v_addc_co_u32_e32 v9, vcc, v15, v9, vcc
	global_store_dwordx4 v[8:9], v[0:3], off
	s_nop 0
	v_mov_b32_e32 v1, s2
	v_add_co_u32_e32 v0, vcc, s3, v8
	v_addc_co_u32_e32 v1, vcc, v9, v1, vcc
	global_store_dwordx4 v[0:1], v[4:7], off
.LBB0_10:
	s_endpgm
	.section	.rodata,"a",@progbits
	.p2align	6, 0x0
	.amdhsa_kernel bluestein_single_back_len605_dim1_dp_op_CI_CI
		.amdhsa_group_segment_fixed_size 9680
		.amdhsa_private_segment_fixed_size 0
		.amdhsa_kernarg_size 104
		.amdhsa_user_sgpr_count 6
		.amdhsa_user_sgpr_private_segment_buffer 1
		.amdhsa_user_sgpr_dispatch_ptr 0
		.amdhsa_user_sgpr_queue_ptr 0
		.amdhsa_user_sgpr_kernarg_segment_ptr 1
		.amdhsa_user_sgpr_dispatch_id 0
		.amdhsa_user_sgpr_flat_scratch_init 0
		.amdhsa_user_sgpr_private_segment_size 0
		.amdhsa_uses_dynamic_stack 0
		.amdhsa_system_sgpr_private_segment_wavefront_offset 0
		.amdhsa_system_sgpr_workgroup_id_x 1
		.amdhsa_system_sgpr_workgroup_id_y 0
		.amdhsa_system_sgpr_workgroup_id_z 0
		.amdhsa_system_sgpr_workgroup_info 0
		.amdhsa_system_vgpr_workitem_id 0
		.amdhsa_next_free_vgpr 241
		.amdhsa_next_free_sgpr 40
		.amdhsa_reserve_vcc 1
		.amdhsa_reserve_flat_scratch 0
		.amdhsa_float_round_mode_32 0
		.amdhsa_float_round_mode_16_64 0
		.amdhsa_float_denorm_mode_32 3
		.amdhsa_float_denorm_mode_16_64 3
		.amdhsa_dx10_clamp 1
		.amdhsa_ieee_mode 1
		.amdhsa_fp16_overflow 0
		.amdhsa_exception_fp_ieee_invalid_op 0
		.amdhsa_exception_fp_denorm_src 0
		.amdhsa_exception_fp_ieee_div_zero 0
		.amdhsa_exception_fp_ieee_overflow 0
		.amdhsa_exception_fp_ieee_underflow 0
		.amdhsa_exception_fp_ieee_inexact 0
		.amdhsa_exception_int_div_zero 0
	.end_amdhsa_kernel
	.text
.Lfunc_end0:
	.size	bluestein_single_back_len605_dim1_dp_op_CI_CI, .Lfunc_end0-bluestein_single_back_len605_dim1_dp_op_CI_CI
                                        ; -- End function
	.section	.AMDGPU.csdata,"",@progbits
; Kernel info:
; codeLenInByte = 18860
; NumSgprs: 44
; NumVgprs: 241
; ScratchSize: 0
; MemoryBound: 0
; FloatMode: 240
; IeeeMode: 1
; LDSByteSize: 9680 bytes/workgroup (compile time only)
; SGPRBlocks: 5
; VGPRBlocks: 60
; NumSGPRsForWavesPerEU: 44
; NumVGPRsForWavesPerEU: 241
; Occupancy: 1
; WaveLimiterHint : 1
; COMPUTE_PGM_RSRC2:SCRATCH_EN: 0
; COMPUTE_PGM_RSRC2:USER_SGPR: 6
; COMPUTE_PGM_RSRC2:TRAP_HANDLER: 0
; COMPUTE_PGM_RSRC2:TGID_X_EN: 1
; COMPUTE_PGM_RSRC2:TGID_Y_EN: 0
; COMPUTE_PGM_RSRC2:TGID_Z_EN: 0
; COMPUTE_PGM_RSRC2:TIDIG_COMP_CNT: 0
	.type	__hip_cuid_274efac2ed3680f8,@object ; @__hip_cuid_274efac2ed3680f8
	.section	.bss,"aw",@nobits
	.globl	__hip_cuid_274efac2ed3680f8
__hip_cuid_274efac2ed3680f8:
	.byte	0                               ; 0x0
	.size	__hip_cuid_274efac2ed3680f8, 1

	.ident	"AMD clang version 19.0.0git (https://github.com/RadeonOpenCompute/llvm-project roc-6.4.0 25133 c7fe45cf4b819c5991fe208aaa96edf142730f1d)"
	.section	".note.GNU-stack","",@progbits
	.addrsig
	.addrsig_sym __hip_cuid_274efac2ed3680f8
	.amdgpu_metadata
---
amdhsa.kernels:
  - .args:
      - .actual_access:  read_only
        .address_space:  global
        .offset:         0
        .size:           8
        .value_kind:     global_buffer
      - .actual_access:  read_only
        .address_space:  global
        .offset:         8
        .size:           8
        .value_kind:     global_buffer
      - .actual_access:  read_only
        .address_space:  global
        .offset:         16
        .size:           8
        .value_kind:     global_buffer
      - .actual_access:  read_only
        .address_space:  global
        .offset:         24
        .size:           8
        .value_kind:     global_buffer
      - .actual_access:  read_only
        .address_space:  global
        .offset:         32
        .size:           8
        .value_kind:     global_buffer
      - .offset:         40
        .size:           8
        .value_kind:     by_value
      - .address_space:  global
        .offset:         48
        .size:           8
        .value_kind:     global_buffer
      - .address_space:  global
        .offset:         56
        .size:           8
        .value_kind:     global_buffer
      - .address_space:  global
        .offset:         64
        .size:           8
        .value_kind:     global_buffer
      - .address_space:  global
        .offset:         72
        .size:           8
        .value_kind:     global_buffer
      - .offset:         80
        .size:           4
        .value_kind:     by_value
      - .address_space:  global
        .offset:         88
        .size:           8
        .value_kind:     global_buffer
      - .address_space:  global
        .offset:         96
        .size:           8
        .value_kind:     global_buffer
    .group_segment_fixed_size: 9680
    .kernarg_segment_align: 8
    .kernarg_segment_size: 104
    .language:       OpenCL C
    .language_version:
      - 2
      - 0
    .max_flat_workgroup_size: 55
    .name:           bluestein_single_back_len605_dim1_dp_op_CI_CI
    .private_segment_fixed_size: 0
    .sgpr_count:     44
    .sgpr_spill_count: 0
    .symbol:         bluestein_single_back_len605_dim1_dp_op_CI_CI.kd
    .uniform_work_group_size: 1
    .uses_dynamic_stack: false
    .vgpr_count:     241
    .vgpr_spill_count: 0
    .wavefront_size: 64
amdhsa.target:   amdgcn-amd-amdhsa--gfx906
amdhsa.version:
  - 1
  - 2
...

	.end_amdgpu_metadata
